;; amdgpu-corpus repo=ROCm/rocFFT kind=compiled arch=gfx906 opt=O3
	.text
	.amdgcn_target "amdgcn-amd-amdhsa--gfx906"
	.amdhsa_code_object_version 6
	.protected	bluestein_single_fwd_len1911_dim1_half_op_CI_CI ; -- Begin function bluestein_single_fwd_len1911_dim1_half_op_CI_CI
	.globl	bluestein_single_fwd_len1911_dim1_half_op_CI_CI
	.p2align	8
	.type	bluestein_single_fwd_len1911_dim1_half_op_CI_CI,@function
bluestein_single_fwd_len1911_dim1_half_op_CI_CI: ; @bluestein_single_fwd_len1911_dim1_half_op_CI_CI
; %bb.0:
	s_load_dwordx4 s[0:3], s[4:5], 0x28
	v_mul_u32_u24_e32 v1, 0x2d1, v0
	v_add_u32_sdwa v22, s6, v1 dst_sel:DWORD dst_unused:UNUSED_PAD src0_sel:DWORD src1_sel:WORD_1
	v_mov_b32_e32 v23, 0
	s_waitcnt lgkmcnt(0)
	v_cmp_gt_u64_e32 vcc, s[0:1], v[22:23]
	s_and_saveexec_b64 s[0:1], vcc
	s_cbranch_execz .LBB0_15
; %bb.1:
	s_load_dwordx4 s[8:11], s[4:5], 0x18
	s_movk_i32 s0, 0x5b
	v_mul_lo_u16_sdwa v1, v1, s0 dst_sel:DWORD dst_unused:UNUSED_PAD src0_sel:WORD_1 src1_sel:DWORD
	v_sub_u16_e32 v83, v0, v1
	v_lshlrev_b32_e32 v71, 2, v83
	s_waitcnt lgkmcnt(0)
	s_load_dwordx4 s[12:15], s[8:9], 0x0
	s_movk_i32 s8, 0x1000
	s_load_dwordx2 s[6:7], s[4:5], 0x38
	s_waitcnt lgkmcnt(0)
	v_mad_u64_u32 v[0:1], s[0:1], s14, v22, 0
	v_mad_u64_u32 v[2:3], s[0:1], s12, v83, 0
	;; [unrolled: 1-line block ×3, first 2 shown]
	s_load_dwordx2 s[14:15], s[4:5], 0x0
	v_mad_u64_u32 v[5:6], s[0:1], s13, v83, v[3:4]
	v_mov_b32_e32 v1, v4
	v_lshlrev_b64 v[0:1], 2, v[0:1]
	v_mov_b32_e32 v6, s3
	v_mov_b32_e32 v3, v5
	v_add_co_u32_e32 v4, vcc, s2, v0
	v_addc_co_u32_e32 v5, vcc, v6, v1, vcc
	v_lshlrev_b64 v[0:1], 2, v[2:3]
	s_waitcnt lgkmcnt(0)
	global_load_dword v85, v71, s[14:15]
	global_load_dword v84, v71, s[14:15] offset:588
	v_add_co_u32_e32 v0, vcc, v4, v0
	v_addc_co_u32_e32 v1, vcc, v5, v1, vcc
	global_load_dword v4, v[0:1], off
	s_mul_i32 s1, s13, 0x93
	s_mul_hi_u32 s2, s12, 0x93
	s_mul_i32 s0, s12, 0x93
	s_add_i32 s1, s2, s1
	s_lshl_b64 s[16:17], s[0:1], 2
	v_mov_b32_e32 v5, s17
	v_add_co_u32_e32 v0, vcc, s16, v0
	v_addc_co_u32_e32 v1, vcc, v1, v5, vcc
	global_load_dword v6, v[0:1], off
	v_add_co_u32_e32 v0, vcc, s16, v0
	v_addc_co_u32_e32 v1, vcc, v1, v5, vcc
	global_load_dword v7, v[0:1], off
	global_load_dword v82, v71, s[14:15] offset:1176
	global_load_dword v81, v71, s[14:15] offset:1764
	;; [unrolled: 1-line block ×5, first 2 shown]
	v_add_co_u32_e32 v0, vcc, s16, v0
	v_addc_co_u32_e32 v1, vcc, v1, v5, vcc
	global_load_dword v8, v[0:1], off
	v_add_co_u32_e32 v0, vcc, s16, v0
	v_mov_b32_e32 v2, s15
	v_addc_co_u32_e32 v1, vcc, v1, v5, vcc
	v_add_co_u32_e64 v20, s[2:3], s14, v71
	global_load_dword v9, v[0:1], off
	v_addc_co_u32_e64 v21, vcc, 0, v2, s[2:3]
	v_add_co_u32_e32 v0, vcc, s16, v0
	v_addc_co_u32_e32 v1, vcc, v1, v5, vcc
	global_load_dword v10, v[0:1], off
	v_add_co_u32_e32 v2, vcc, s16, v0
	v_addc_co_u32_e32 v3, vcc, v1, v5, vcc
	global_load_dword v11, v[2:3], off
	v_add_co_u32_e32 v0, vcc, s8, v20
	v_addc_co_u32_e32 v1, vcc, 0, v21, vcc
	v_add_co_u32_e32 v2, vcc, s16, v2
	v_addc_co_u32_e32 v3, vcc, v3, v5, vcc
	global_load_dword v12, v[2:3], off
	global_load_dword v77, v[0:1], off offset:20
	v_add_co_u32_e32 v2, vcc, s16, v2
	v_addc_co_u32_e32 v3, vcc, v3, v5, vcc
	s_load_dwordx4 s[8:11], s[10:11], 0x0
	global_load_dword v13, v[2:3], off
	global_load_dword v76, v[0:1], off offset:608
	global_load_dword v75, v[0:1], off offset:1196
	v_add_co_u32_e32 v2, vcc, s16, v2
	v_addc_co_u32_e32 v3, vcc, v3, v5, vcc
	global_load_dword v14, v[2:3], off
	v_add_co_u32_e32 v2, vcc, s16, v2
	v_addc_co_u32_e32 v3, vcc, v3, v5, vcc
	global_load_dword v17, v[2:3], off
	global_load_dword v74, v[0:1], off offset:1784
	v_add_co_u32_e32 v2, vcc, s16, v2
	v_addc_co_u32_e32 v3, vcc, v3, v5, vcc
	global_load_dword v18, v[2:3], off
	global_load_dword v73, v[0:1], off offset:2372
	v_add_co_u32_e32 v2, vcc, s16, v2
	v_addc_co_u32_e32 v3, vcc, v3, v5, vcc
	v_cmp_gt_u16_e64 s[0:1], 56, v83
	s_waitcnt vmcnt(21)
	v_lshrrev_b32_e32 v15, 16, v4
	v_mul_f16_sdwa v16, v85, v15 dst_sel:DWORD dst_unused:UNUSED_PAD src0_sel:WORD_1 src1_sel:DWORD
	v_fma_f16 v16, v85, v4, v16
	v_mul_f16_sdwa v4, v85, v4 dst_sel:DWORD dst_unused:UNUSED_PAD src0_sel:WORD_1 src1_sel:DWORD
	v_fma_f16 v4, v85, v15, -v4
	global_load_dword v15, v[2:3], off
	global_load_dword v72, v[0:1], off offset:2960
	v_pack_b32_f16 v4, v16, v4
	s_waitcnt vmcnt(22)
	v_lshrrev_b32_e32 v5, 16, v6
	v_mul_f16_sdwa v16, v84, v5 dst_sel:DWORD dst_unused:UNUSED_PAD src0_sel:WORD_1 src1_sel:DWORD
	v_fma_f16 v16, v84, v6, v16
	v_mul_f16_sdwa v6, v84, v6 dst_sel:DWORD dst_unused:UNUSED_PAD src0_sel:WORD_1 src1_sel:DWORD
	v_fma_f16 v5, v84, v5, -v6
	v_pack_b32_f16 v5, v16, v5
	ds_write2_b32 v71, v4, v5 offset1:147
	s_waitcnt vmcnt(21)
	v_lshrrev_b32_e32 v4, 16, v7
	s_waitcnt vmcnt(20)
	v_mul_f16_sdwa v5, v82, v4 dst_sel:DWORD dst_unused:UNUSED_PAD src0_sel:WORD_1 src1_sel:DWORD
	v_mul_f16_sdwa v6, v82, v7 dst_sel:DWORD dst_unused:UNUSED_PAD src0_sel:WORD_1 src1_sel:DWORD
	v_fma_f16 v5, v82, v7, v5
	v_fma_f16 v4, v82, v4, -v6
	v_pack_b32_f16 v5, v5, v4
	s_waitcnt vmcnt(15)
	v_lshrrev_b32_e32 v4, 16, v8
	v_mul_f16_sdwa v6, v81, v4 dst_sel:DWORD dst_unused:UNUSED_PAD src0_sel:WORD_1 src1_sel:DWORD
	v_mul_f16_sdwa v7, v81, v8 dst_sel:DWORD dst_unused:UNUSED_PAD src0_sel:WORD_1 src1_sel:DWORD
	v_fma_f16 v6, v81, v8, v6
	v_fma_f16 v4, v81, v4, -v7
	v_pack_b32_f16 v6, v6, v4
	v_add_u32_e32 v4, 0x400, v71
	ds_write2_b32 v4, v5, v6 offset0:38 offset1:185
	s_waitcnt vmcnt(14)
	v_lshrrev_b32_e32 v5, 16, v9
	v_mul_f16_sdwa v6, v80, v5 dst_sel:DWORD dst_unused:UNUSED_PAD src0_sel:WORD_1 src1_sel:DWORD
	v_mul_f16_sdwa v7, v80, v9 dst_sel:DWORD dst_unused:UNUSED_PAD src0_sel:WORD_1 src1_sel:DWORD
	v_fma_f16 v6, v80, v9, v6
	v_fma_f16 v5, v80, v5, -v7
	v_pack_b32_f16 v6, v6, v5
	s_waitcnt vmcnt(13)
	v_lshrrev_b32_e32 v5, 16, v10
	v_mul_f16_sdwa v7, v79, v5 dst_sel:DWORD dst_unused:UNUSED_PAD src0_sel:WORD_1 src1_sel:DWORD
	v_mul_f16_sdwa v8, v79, v10 dst_sel:DWORD dst_unused:UNUSED_PAD src0_sel:WORD_1 src1_sel:DWORD
	v_fma_f16 v7, v79, v10, v7
	v_fma_f16 v5, v79, v5, -v8
	v_pack_b32_f16 v7, v7, v5
	v_add_u32_e32 v5, 0x800, v71
	ds_write2_b32 v5, v6, v7 offset0:76 offset1:223
	s_waitcnt vmcnt(12)
	v_lshrrev_b32_e32 v6, 16, v11
	v_mul_f16_sdwa v7, v78, v6 dst_sel:DWORD dst_unused:UNUSED_PAD src0_sel:WORD_1 src1_sel:DWORD
	v_mul_f16_sdwa v8, v78, v11 dst_sel:DWORD dst_unused:UNUSED_PAD src0_sel:WORD_1 src1_sel:DWORD
	v_fma_f16 v7, v78, v11, v7
	v_fma_f16 v6, v78, v6, -v8
	v_pack_b32_f16 v7, v7, v6
	s_waitcnt vmcnt(11)
	v_lshrrev_b32_e32 v6, 16, v12
	s_waitcnt vmcnt(10)
	v_mul_f16_sdwa v8, v77, v6 dst_sel:DWORD dst_unused:UNUSED_PAD src0_sel:WORD_1 src1_sel:DWORD
	v_mul_f16_sdwa v9, v77, v12 dst_sel:DWORD dst_unused:UNUSED_PAD src0_sel:WORD_1 src1_sel:DWORD
	v_fma_f16 v8, v77, v12, v8
	v_fma_f16 v6, v77, v6, -v9
	v_pack_b32_f16 v8, v8, v6
	v_add_u32_e32 v6, 0xd00, v71
	ds_write2_b32 v6, v7, v8 offset0:50 offset1:197
	s_waitcnt vmcnt(9)
	v_lshrrev_b32_e32 v7, 16, v13
	s_waitcnt vmcnt(8)
	v_mul_f16_sdwa v8, v76, v7 dst_sel:DWORD dst_unused:UNUSED_PAD src0_sel:WORD_1 src1_sel:DWORD
	v_mul_f16_sdwa v9, v76, v13 dst_sel:DWORD dst_unused:UNUSED_PAD src0_sel:WORD_1 src1_sel:DWORD
	v_fma_f16 v8, v76, v13, v8
	v_fma_f16 v7, v76, v7, -v9
	v_pack_b32_f16 v8, v8, v7
	s_waitcnt vmcnt(6)
	v_lshrrev_b32_e32 v7, 16, v14
	v_mul_f16_sdwa v9, v75, v7 dst_sel:DWORD dst_unused:UNUSED_PAD src0_sel:WORD_1 src1_sel:DWORD
	v_mul_f16_sdwa v10, v75, v14 dst_sel:DWORD dst_unused:UNUSED_PAD src0_sel:WORD_1 src1_sel:DWORD
	v_fma_f16 v9, v75, v14, v9
	v_fma_f16 v7, v75, v7, -v10
	v_pack_b32_f16 v9, v9, v7
	v_add_u32_e32 v7, 0x1200, v71
	ds_write2_b32 v7, v8, v9 offset0:24 offset1:171
	s_waitcnt vmcnt(5)
	v_lshrrev_b32_e32 v8, 16, v17
	s_waitcnt vmcnt(4)
	v_mul_f16_sdwa v9, v74, v8 dst_sel:DWORD dst_unused:UNUSED_PAD src0_sel:WORD_1 src1_sel:DWORD
	v_mul_f16_sdwa v10, v74, v17 dst_sel:DWORD dst_unused:UNUSED_PAD src0_sel:WORD_1 src1_sel:DWORD
	v_fma_f16 v9, v74, v17, v9
	v_fma_f16 v8, v74, v8, -v10
	v_pack_b32_f16 v9, v9, v8
	s_waitcnt vmcnt(3)
	v_lshrrev_b32_e32 v8, 16, v18
	s_waitcnt vmcnt(2)
	v_mul_f16_sdwa v10, v73, v8 dst_sel:DWORD dst_unused:UNUSED_PAD src0_sel:WORD_1 src1_sel:DWORD
	v_mul_f16_sdwa v11, v73, v18 dst_sel:DWORD dst_unused:UNUSED_PAD src0_sel:WORD_1 src1_sel:DWORD
	v_fma_f16 v10, v73, v18, v10
	v_fma_f16 v8, v73, v8, -v11
	v_pack_b32_f16 v10, v10, v8
	v_add_u32_e32 v8, 0x1600, v71
	ds_write2_b32 v8, v9, v10 offset0:62 offset1:209
	s_waitcnt vmcnt(1)
	v_lshrrev_b32_e32 v9, 16, v15
	s_waitcnt vmcnt(0)
	v_mul_f16_sdwa v10, v72, v9 dst_sel:DWORD dst_unused:UNUSED_PAD src0_sel:WORD_1 src1_sel:DWORD
	v_mul_f16_sdwa v11, v72, v15 dst_sel:DWORD dst_unused:UNUSED_PAD src0_sel:WORD_1 src1_sel:DWORD
	v_fma_f16 v10, v72, v15, v10
	v_fma_f16 v9, v72, v9, -v11
	v_pack_b32_f16 v9, v10, v9
	ds_write_b32 v71, v9 offset:7056
	s_and_saveexec_b64 s[18:19], s[0:1]
	s_cbranch_execz .LBB0_3
; %bb.2:
	v_mov_b32_e32 v9, 0xffffe5dc
	v_mad_u64_u32 v[2:3], s[20:21], s12, v9, v[2:3]
	s_mulk_i32 s13, 0xe5dc
	s_sub_i32 s12, s13, s12
	v_add_u32_e32 v3, s12, v3
	global_load_dword v9, v[2:3], off
	global_load_dword v10, v[20:21], off offset:364
	v_mov_b32_e32 v11, s17
	v_add_co_u32_e32 v2, vcc, s16, v2
	v_addc_co_u32_e32 v3, vcc, v3, v11, vcc
	global_load_dword v12, v[2:3], off
	global_load_dword v13, v[20:21], off offset:952
	v_add_co_u32_e32 v2, vcc, s16, v2
	v_addc_co_u32_e32 v3, vcc, v3, v11, vcc
	global_load_dword v14, v[2:3], off
	global_load_dword v15, v[20:21], off offset:1540
	v_add_co_u32_e32 v2, vcc, s16, v2
	v_addc_co_u32_e32 v3, vcc, v3, v11, vcc
	global_load_dword v16, v[2:3], off
	global_load_dword v17, v[20:21], off offset:2128
	v_add_co_u32_e32 v2, vcc, s16, v2
	v_addc_co_u32_e32 v3, vcc, v3, v11, vcc
	global_load_dword v18, v[2:3], off
	global_load_dword v19, v[20:21], off offset:2716
	v_add_co_u32_e32 v2, vcc, s16, v2
	v_addc_co_u32_e32 v3, vcc, v3, v11, vcc
	global_load_dword v23, v[2:3], off
	global_load_dword v24, v[20:21], off offset:3304
	v_add_co_u32_e32 v2, vcc, s16, v2
	v_addc_co_u32_e32 v3, vcc, v3, v11, vcc
	global_load_dword v25, v[2:3], off
	global_load_dword v26, v[20:21], off offset:3892
	v_add_co_u32_e32 v2, vcc, s16, v2
	v_addc_co_u32_e32 v3, vcc, v3, v11, vcc
	global_load_dword v27, v[2:3], off
	global_load_dword v28, v[0:1], off offset:384
	global_load_dword v29, v[0:1], off offset:972
	v_add_co_u32_e32 v2, vcc, s16, v2
	v_addc_co_u32_e32 v3, vcc, v3, v11, vcc
	global_load_dword v30, v[2:3], off
	v_add_co_u32_e32 v2, vcc, s16, v2
	v_addc_co_u32_e32 v3, vcc, v3, v11, vcc
	global_load_dword v31, v[2:3], off
	global_load_dword v32, v[0:1], off offset:1560
	global_load_dword v33, v[0:1], off offset:2148
	;; [unrolled: 1-line block ×4, first 2 shown]
	v_add_co_u32_e32 v0, vcc, s16, v2
	v_addc_co_u32_e32 v1, vcc, v3, v11, vcc
	global_load_dword v2, v[0:1], off
	v_add_co_u32_e32 v0, vcc, s16, v0
	v_addc_co_u32_e32 v1, vcc, v1, v11, vcc
	global_load_dword v3, v[0:1], off
	;; [unrolled: 3-line block ×3, first 2 shown]
	s_waitcnt vmcnt(25)
	v_lshrrev_b32_e32 v1, 16, v9
	s_waitcnt vmcnt(24)
	v_mul_f16_sdwa v11, v10, v9 dst_sel:DWORD dst_unused:UNUSED_PAD src0_sel:WORD_1 src1_sel:DWORD
	v_mul_f16_sdwa v36, v10, v1 dst_sel:DWORD dst_unused:UNUSED_PAD src0_sel:WORD_1 src1_sel:DWORD
	v_fma_f16 v1, v10, v1, -v11
	v_fma_f16 v9, v10, v9, v36
	v_pack_b32_f16 v1, v9, v1
	s_waitcnt vmcnt(23)
	v_lshrrev_b32_e32 v11, 16, v12
	s_waitcnt vmcnt(22)
	v_mul_f16_sdwa v10, v13, v11 dst_sel:DWORD dst_unused:UNUSED_PAD src0_sel:WORD_1 src1_sel:DWORD
	v_fma_f16 v9, v13, v12, v10
	v_mul_f16_sdwa v10, v13, v12 dst_sel:DWORD dst_unused:UNUSED_PAD src0_sel:WORD_1 src1_sel:DWORD
	v_fma_f16 v10, v13, v11, -v10
	v_pack_b32_f16 v9, v9, v10
	ds_write2_b32 v71, v1, v9 offset0:91 offset1:238
	s_waitcnt vmcnt(21)
	v_lshrrev_b32_e32 v1, 16, v14
	s_waitcnt vmcnt(20)
	v_mul_f16_sdwa v9, v15, v1 dst_sel:DWORD dst_unused:UNUSED_PAD src0_sel:WORD_1 src1_sel:DWORD
	v_mul_f16_sdwa v10, v15, v14 dst_sel:DWORD dst_unused:UNUSED_PAD src0_sel:WORD_1 src1_sel:DWORD
	v_fma_f16 v9, v15, v14, v9
	v_fma_f16 v1, v15, v1, -v10
	v_pack_b32_f16 v1, v9, v1
	s_waitcnt vmcnt(19)
	v_lshrrev_b32_e32 v9, 16, v16
	s_waitcnt vmcnt(18)
	v_mul_f16_sdwa v10, v17, v9 dst_sel:DWORD dst_unused:UNUSED_PAD src0_sel:WORD_1 src1_sel:DWORD
	v_mul_f16_sdwa v11, v17, v16 dst_sel:DWORD dst_unused:UNUSED_PAD src0_sel:WORD_1 src1_sel:DWORD
	v_fma_f16 v10, v17, v16, v10
	v_fma_f16 v9, v17, v9, -v11
	v_pack_b32_f16 v9, v10, v9
	v_add_u32_e32 v10, 0x600, v71
	ds_write2_b32 v10, v1, v9 offset0:1 offset1:148
	s_waitcnt vmcnt(17)
	v_lshrrev_b32_e32 v1, 16, v18
	s_waitcnt vmcnt(16)
	v_mul_f16_sdwa v9, v19, v1 dst_sel:DWORD dst_unused:UNUSED_PAD src0_sel:WORD_1 src1_sel:DWORD
	v_mul_f16_sdwa v10, v19, v18 dst_sel:DWORD dst_unused:UNUSED_PAD src0_sel:WORD_1 src1_sel:DWORD
	v_fma_f16 v9, v19, v18, v9
	v_fma_f16 v1, v19, v1, -v10
	v_pack_b32_f16 v1, v9, v1
	s_waitcnt vmcnt(15)
	v_lshrrev_b32_e32 v9, 16, v23
	s_waitcnt vmcnt(14)
	v_mul_f16_sdwa v10, v24, v9 dst_sel:DWORD dst_unused:UNUSED_PAD src0_sel:WORD_1 src1_sel:DWORD
	v_mul_f16_sdwa v11, v24, v23 dst_sel:DWORD dst_unused:UNUSED_PAD src0_sel:WORD_1 src1_sel:DWORD
	v_fma_f16 v10, v24, v23, v10
	v_fma_f16 v9, v24, v9, -v11
	v_pack_b32_f16 v9, v10, v9
	v_add_u32_e32 v10, 0xa00, v71
	ds_write2_b32 v10, v1, v9 offset0:39 offset1:186
	s_waitcnt vmcnt(13)
	v_lshrrev_b32_e32 v1, 16, v25
	s_waitcnt vmcnt(12)
	v_mul_f16_sdwa v9, v26, v1 dst_sel:DWORD dst_unused:UNUSED_PAD src0_sel:WORD_1 src1_sel:DWORD
	v_mul_f16_sdwa v10, v26, v25 dst_sel:DWORD dst_unused:UNUSED_PAD src0_sel:WORD_1 src1_sel:DWORD
	v_fma_f16 v9, v26, v25, v9
	v_fma_f16 v1, v26, v1, -v10
	v_pack_b32_f16 v1, v9, v1
	s_waitcnt vmcnt(11)
	v_lshrrev_b32_e32 v9, 16, v27
	s_waitcnt vmcnt(10)
	v_mul_f16_sdwa v10, v28, v9 dst_sel:DWORD dst_unused:UNUSED_PAD src0_sel:WORD_1 src1_sel:DWORD
	v_mul_f16_sdwa v11, v28, v27 dst_sel:DWORD dst_unused:UNUSED_PAD src0_sel:WORD_1 src1_sel:DWORD
	v_fma_f16 v10, v28, v27, v10
	v_fma_f16 v9, v28, v9, -v11
	v_pack_b32_f16 v9, v10, v9
	v_add_u32_e32 v10, 0xe00, v71
	ds_write2_b32 v10, v1, v9 offset0:77 offset1:224
	s_waitcnt vmcnt(8)
	v_lshrrev_b32_e32 v1, 16, v30
	v_mul_f16_sdwa v9, v29, v1 dst_sel:DWORD dst_unused:UNUSED_PAD src0_sel:WORD_1 src1_sel:DWORD
	v_mul_f16_sdwa v10, v29, v30 dst_sel:DWORD dst_unused:UNUSED_PAD src0_sel:WORD_1 src1_sel:DWORD
	v_fma_f16 v9, v29, v30, v9
	v_fma_f16 v1, v29, v1, -v10
	v_pack_b32_f16 v1, v9, v1
	s_waitcnt vmcnt(7)
	v_lshrrev_b32_e32 v9, 16, v31
	s_waitcnt vmcnt(6)
	v_mul_f16_sdwa v10, v32, v9 dst_sel:DWORD dst_unused:UNUSED_PAD src0_sel:WORD_1 src1_sel:DWORD
	v_mul_f16_sdwa v11, v32, v31 dst_sel:DWORD dst_unused:UNUSED_PAD src0_sel:WORD_1 src1_sel:DWORD
	v_fma_f16 v10, v32, v31, v10
	v_fma_f16 v9, v32, v9, -v11
	v_pack_b32_f16 v9, v10, v9
	v_add_u32_e32 v10, 0x1300, v71
	ds_write2_b32 v10, v1, v9 offset0:51 offset1:198
	s_waitcnt vmcnt(2)
	v_lshrrev_b32_e32 v1, 16, v2
	v_mul_f16_sdwa v9, v33, v1 dst_sel:DWORD dst_unused:UNUSED_PAD src0_sel:WORD_1 src1_sel:DWORD
	v_fma_f16 v9, v33, v2, v9
	v_mul_f16_sdwa v2, v33, v2 dst_sel:DWORD dst_unused:UNUSED_PAD src0_sel:WORD_1 src1_sel:DWORD
	v_fma_f16 v1, v33, v1, -v2
	s_waitcnt vmcnt(1)
	v_lshrrev_b32_e32 v2, 16, v3
	v_pack_b32_f16 v1, v9, v1
	v_mul_f16_sdwa v9, v34, v2 dst_sel:DWORD dst_unused:UNUSED_PAD src0_sel:WORD_1 src1_sel:DWORD
	v_fma_f16 v9, v34, v3, v9
	v_mul_f16_sdwa v3, v34, v3 dst_sel:DWORD dst_unused:UNUSED_PAD src0_sel:WORD_1 src1_sel:DWORD
	v_fma_f16 v2, v34, v2, -v3
	v_pack_b32_f16 v2, v9, v2
	v_add_u32_e32 v3, 0x1800, v71
	ds_write2_b32 v3, v1, v2 offset0:25 offset1:172
	s_waitcnt vmcnt(0)
	v_lshrrev_b32_e32 v1, 16, v0
	v_mul_f16_sdwa v2, v35, v1 dst_sel:DWORD dst_unused:UNUSED_PAD src0_sel:WORD_1 src1_sel:DWORD
	v_fma_f16 v2, v35, v0, v2
	v_mul_f16_sdwa v0, v35, v0 dst_sel:DWORD dst_unused:UNUSED_PAD src0_sel:WORD_1 src1_sel:DWORD
	v_fma_f16 v0, v35, v1, -v0
	v_pack_b32_f16 v0, v2, v0
	ds_write_b32 v71, v0 offset:7420
.LBB0_3:
	s_or_b64 exec, exec, s[18:19]
	s_waitcnt lgkmcnt(0)
	s_barrier
	ds_read2_b32 v[12:13], v71 offset1:147
	ds_read2_b32 v[25:26], v4 offset0:38 offset1:185
	ds_read2_b32 v[16:17], v5 offset0:76 offset1:223
	;; [unrolled: 1-line block ×5, first 2 shown]
	ds_read_b32 v39, v71 offset:7056
	s_load_dwordx2 s[4:5], s[4:5], 0x8
	v_mov_b32_e32 v0, 0
                                        ; implicit-def: $vgpr29
                                        ; implicit-def: $vgpr11
                                        ; implicit-def: $vgpr9
                                        ; implicit-def: $vgpr7
                                        ; implicit-def: $vgpr5
                                        ; implicit-def: $vgpr3
	s_and_saveexec_b64 s[12:13], s[0:1]
	s_cbranch_execz .LBB0_5
; %bb.4:
	v_add_u32_e32 v2, 0x600, v71
	v_add_u32_e32 v4, 0xa00, v71
	;; [unrolled: 1-line block ×5, first 2 shown]
	ds_read2_b32 v[0:1], v71 offset0:91 offset1:238
	ds_read2_b32 v[2:3], v2 offset0:1 offset1:148
	;; [unrolled: 1-line block ×6, first 2 shown]
	ds_read_b32 v29, v71 offset:7420
.LBB0_5:
	s_or_b64 exec, exec, s[12:13]
	s_waitcnt lgkmcnt(0)
	v_pk_add_f16 v31, v1, v29 neg_lo:[0,1] neg_hi:[0,1]
	s_mov_b32 s19, 0xbb7b
	v_pk_add_f16 v30, v29, v1
	s_mov_b32 s18, 0xb5ac
	v_mul_f16_sdwa v38, v31, s19 dst_sel:DWORD dst_unused:UNUSED_PAD src0_sel:WORD_1 src1_sel:DWORD
	s_mov_b32 s21, 0xb94e
	v_pk_add_f16 v33, v2, v11 neg_lo:[0,1] neg_hi:[0,1]
	s_movk_i32 s35, 0x394e
	v_pk_add_f16 v55, v12, v13
	v_fma_f16 v23, v30, s18, v38
	s_mov_b32 s20, 0xb9fd
	v_mul_f16_sdwa v43, v31, s21 dst_sel:DWORD dst_unused:UNUSED_PAD src0_sel:WORD_1 src1_sel:DWORD
	v_pk_add_f16 v32, v11, v2
	v_mul_f16_sdwa v45, v33, s35 dst_sel:DWORD dst_unused:UNUSED_PAD src0_sel:WORD_1 src1_sel:DWORD
	s_movk_i32 s22, 0x3bf1
	s_movk_i32 s14, 0x2fb7
	v_add_f16_e32 v23, v23, v0
	v_fma_f16 v24, v30, s20, v43
	v_fma_f16 v34, v32, s20, v45
	v_mul_f16_sdwa v46, v33, s22 dst_sel:DWORD dst_unused:UNUSED_PAD src0_sel:WORD_1 src1_sel:DWORD
	v_pk_add_f16 v55, v55, v25
	v_add_f16_e32 v24, v24, v0
	v_add_f16_e32 v23, v34, v23
	v_fma_f16 v34, v32, s14, v46
	v_pk_add_f16 v35, v3, v10 neg_lo:[0,1] neg_hi:[0,1]
	s_movk_i32 s24, 0x3770
	v_pk_add_f16 v55, v55, v26
	s_movk_i32 s16, 0x3b15
	s_mov_b32 s27, 0xba95
	v_add_f16_e32 v24, v34, v24
	v_pk_add_f16 v34, v10, v3
	v_mul_f16_sdwa v47, v35, s24 dst_sel:DWORD dst_unused:UNUSED_PAD src0_sel:WORD_1 src1_sel:DWORD
	v_pk_add_f16 v55, v55, v16
	s_movk_i32 s17, 0x388b
	v_fma_f16 v36, v34, s16, v47
	v_mul_f16_sdwa v48, v35, s27 dst_sel:DWORD dst_unused:UNUSED_PAD src0_sel:WORD_1 src1_sel:DWORD
	v_pk_add_f16 v55, v55, v17
	s_mov_b32 s29, 0xbbf1
	v_add_f16_e32 v23, v36, v23
	v_fma_f16 v36, v34, s17, v48
	v_pk_add_f16 v37, v4, v9 neg_lo:[0,1] neg_hi:[0,1]
	v_pk_add_f16 v55, v55, v14
	v_add_f16_e32 v24, v36, v24
	v_pk_add_f16 v36, v9, v4
	v_mul_f16_sdwa v49, v37, s29 dst_sel:DWORD dst_unused:UNUSED_PAD src0_sel:WORD_1 src1_sel:DWORD
	s_movk_i32 s34, 0x33a8
	v_pk_add_f16 v55, v55, v15
	s_mov_b32 s23, 0xbbc4
	v_fma_f16 v40, v36, s14, v49
	v_mul_f16_sdwa v50, v37, s34 dst_sel:DWORD dst_unused:UNUSED_PAD src0_sel:WORD_1 src1_sel:DWORD
	v_pk_add_f16 v55, v55, v18
	s_mov_b32 s30, 0xb770
	v_add_f16_e32 v23, v40, v23
	v_fma_f16 v40, v36, s23, v50
	v_pk_add_f16 v41, v5, v8 neg_lo:[0,1] neg_hi:[0,1]
	v_pk_add_f16 v55, v55, v19
	v_pk_add_f16 v60, v13, v39 neg_lo:[0,1] neg_hi:[0,1]
	v_add_f16_e32 v24, v40, v24
	v_pk_add_f16 v40, v8, v5
	v_mul_f16_sdwa v51, v41, s34 dst_sel:DWORD dst_unused:UNUSED_PAD src0_sel:WORD_1 src1_sel:DWORD
	v_pk_add_f16 v55, v55, v27
	v_pk_add_f16 v59, v39, v13
	v_mul_f16_sdwa v61, v60, s30 dst_sel:DWORD dst_unused:UNUSED_PAD src0_sel:WORD_1 src1_sel:DWORD
	v_fma_f16 v42, v40, s23, v51
	v_mul_f16_sdwa v52, v41, s24 dst_sel:DWORD dst_unused:UNUSED_PAD src0_sel:WORD_1 src1_sel:DWORD
	v_pk_add_f16 v58, v55, v28
	v_pk_add_f16 v13, v28, v25
	v_pk_add_f16 v25, v25, v28 neg_lo:[0,1] neg_hi:[0,1]
	v_pk_add_f16 v28, v27, v26
	v_pk_add_f16 v26, v26, v27 neg_lo:[0,1] neg_hi:[0,1]
	;; [unrolled: 2-line block ×4, first 2 shown]
	v_fma_f16 v17, v59, s16, -v61
	v_add_f16_e32 v23, v42, v23
	v_fma_f16 v42, v40, s16, v52
	v_pk_add_f16 v44, v6, v7 neg_lo:[0,1] neg_hi:[0,1]
	s_movk_i32 s25, 0x3a95
	v_add_f16_e32 v18, v12, v17
	v_mul_f16_sdwa v17, v25, s27 dst_sel:DWORD dst_unused:UNUSED_PAD src0_sel:WORD_1 src1_sel:DWORD
	s_mov_b32 s26, 0x3b15388b
	v_add_f16_e32 v56, v42, v24
	v_pk_add_f16 v42, v7, v6
	v_mul_f16_sdwa v53, v44, s25 dst_sel:DWORD dst_unused:UNUSED_PAD src0_sel:WORD_1 src1_sel:DWORD
	v_fma_f16 v19, v13, s17, -v17
	s_mov_b32 s12, 0xba95b770
	v_fma_f16 v24, v42, s17, v53
	v_mul_f16_sdwa v54, v44, s19 dst_sel:DWORD dst_unused:UNUSED_PAD src0_sel:WORD_1 src1_sel:DWORD
	v_add_f16_e32 v19, v19, v18
	v_pk_mul_f16 v18, v59, s26
	s_mov_b32 s28, 0x388bb5ac
	v_add_f16_e32 v24, v24, v23
	v_fma_f16 v23, v42, s18, v54
	v_pk_fma_f16 v64, v60, s12, v18 op_sel:[0,0,1] op_sel_hi:[1,1,0] neg_lo:[1,0,0] neg_hi:[1,0,0]
	v_pk_fma_f16 v65, v60, s12, v18 op_sel:[0,0,1] op_sel_hi:[1,1,0]
	s_mov_b32 s31, 0xffff
	s_mov_b32 s13, 0xbb7bba95
	v_add_f16_e32 v23, v23, v56
	v_bfi_b32 v18, s31, v65, v64
	v_pk_mul_f16 v56, v13, s28
	v_pk_add_f16 v55, v12, v18 op_sel:[1,0] op_sel_hi:[0,1]
	v_pk_fma_f16 v18, v25, s13, v56 op_sel:[0,0,1] op_sel_hi:[1,1,0] neg_lo:[1,0,0] neg_hi:[1,0,0]
	v_pk_fma_f16 v66, v25, s13, v56 op_sel:[0,0,1] op_sel_hi:[1,1,0]
	v_bfi_b32 v56, s31, v66, v18
	v_lshrrev_b32_e32 v67, 16, v59
	v_mul_f16_e32 v68, 0xba95, v60
	v_pk_add_f16 v56, v56, v55
	v_fma_f16 v55, v67, s17, v68
	v_lshrrev_b32_e32 v69, 16, v13
	v_mul_f16_e32 v70, 0xbb7b, v25
	v_add_f16_sdwa v55, v12, v55 dst_sel:DWORD dst_unused:UNUSED_PAD src0_sel:WORD_1 src1_sel:DWORD
	v_fma_f16 v57, v69, s18, v70
	v_add_f16_e32 v57, v57, v55
	v_mul_f16_sdwa v55, v26, s29 dst_sel:DWORD dst_unused:UNUSED_PAD src0_sel:WORD_1 src1_sel:DWORD
	s_mov_b32 s39, 0x2fb7bbc4
	v_fma_f16 v86, v28, s14, -v55
	s_mov_b32 s36, 0xb3a8bbf1
	v_pk_mul_f16 v87, v28, s39
	v_add_f16_e32 v86, v86, v19
	v_pk_fma_f16 v19, v26, s36, v87 op_sel:[0,0,1] op_sel_hi:[1,1,0] neg_lo:[1,0,0] neg_hi:[1,0,0]
	v_pk_fma_f16 v87, v26, s36, v87 op_sel:[0,0,1] op_sel_hi:[1,1,0]
	v_bfi_b32 v88, s31, v87, v19
	v_lshrrev_b32_e32 v89, 16, v28
	v_mul_f16_e32 v90, 0xb3a8, v26
	v_pk_add_f16 v88, v88, v56
	v_fma_f16 v56, v89, s23, v90
	v_add_f16_e32 v91, v56, v57
	v_mul_f16_sdwa v57, v62, s19 dst_sel:DWORD dst_unused:UNUSED_PAD src0_sel:WORD_1 src1_sel:DWORD
	s_mov_b32 s40, 0xb5acb9fd
	v_fma_f16 v56, v27, s18, -v57
	s_mov_b32 s37, 0x394ebb7b
	v_pk_mul_f16 v92, v27, s40
	v_add_f16_e32 v86, v56, v86
	v_pk_fma_f16 v56, v62, s37, v92 op_sel:[0,0,1] op_sel_hi:[1,1,0] neg_lo:[1,0,0] neg_hi:[1,0,0]
	v_pk_fma_f16 v92, v62, s37, v92 op_sel:[0,0,1] op_sel_hi:[1,1,0]
	v_bfi_b32 v93, s31, v92, v56
	v_pk_add_f16 v88, v93, v88
	v_lshrrev_b32_e32 v93, 16, v27
	v_mul_f16_e32 v94, 0x394e, v62
	v_fma_f16 v95, v93, s20, v94
	v_mul_f16_sdwa v126, v63, s21 dst_sel:DWORD dst_unused:UNUSED_PAD src0_sel:WORD_1 src1_sel:DWORD
	v_add_f16_e32 v91, v95, v91
	v_fma_f16 v95, v16, s20, -v126
	s_mov_b32 s41, 0xb9fd2fb7
	v_add_f16_e32 v86, v95, v86
	s_mov_b32 s38, 0x3bf1b94e
	v_pk_mul_f16 v95, v16, s41
	v_pk_fma_f16 v127, v63, s38, v95 op_sel:[0,0,1] op_sel_hi:[1,1,0] neg_lo:[1,0,0] neg_hi:[1,0,0]
	v_pk_fma_f16 v95, v63, s38, v95 op_sel:[0,0,1] op_sel_hi:[1,1,0]
	v_bfi_b32 v96, s31, v95, v127
	v_pk_add_f16 v88, v96, v88
	v_lshrrev_b32_e32 v96, 16, v16
	v_mul_f16_e32 v97, 0x3bf1, v63
	v_pk_add_f16 v128, v15, v14
	v_pk_add_f16 v14, v14, v15 neg_lo:[0,1] neg_hi:[0,1]
	s_mov_b32 s33, 0xb3a8
	v_fma_f16 v98, v96, s14, v97
	v_mul_f16_sdwa v129, v14, s33 dst_sel:DWORD dst_unused:UNUSED_PAD src0_sel:WORD_1 src1_sel:DWORD
	s_mov_b32 s43, 0xbbc43b15
	v_add_f16_e32 v91, v98, v91
	v_fma_f16 v15, v128, s23, -v129
	s_mov_b32 s42, 0x3770b3a8
	v_pk_mul_f16 v98, v128, s43
	v_add_f16_e32 v15, v15, v86
	v_pk_fma_f16 v130, v14, s42, v98 op_sel:[0,0,1] op_sel_hi:[1,1,0] neg_lo:[1,0,0] neg_hi:[1,0,0]
	v_pk_fma_f16 v86, v14, s42, v98 op_sel:[0,0,1] op_sel_hi:[1,1,0]
	v_bfi_b32 v86, s31, v86, v130
	v_pk_add_f16 v86, v86, v88
	v_lshrrev_b32_e32 v88, 16, v128
	v_mul_f16_e32 v99, 0x3770, v14
	v_fma_f16 v100, v88, s16, v99
	v_add_f16_e32 v91, v100, v91
	v_alignbit_b32 v91, v91, v86, 16
	v_pack_b32_f16 v15, v15, v86
	v_mul_lo_u16_e32 v86, 13, v83
	v_lshlrev_b32_e32 v86, 2, v86
	s_barrier
	ds_write2_b32 v86, v15, v91 offset0:1 offset1:2
	v_mul_f16_sdwa v15, v60, s29 dst_sel:DWORD dst_unused:UNUSED_PAD src0_sel:WORD_1 src1_sel:DWORD
	v_fma_f16 v91, v59, s14, -v15
	v_mul_f16_sdwa v100, v25, s33 dst_sel:DWORD dst_unused:UNUSED_PAD src0_sel:WORD_1 src1_sel:DWORD
	v_add_f16_e32 v91, v12, v91
	v_fma_f16 v101, v13, s23, -v100
	v_add_f16_e32 v91, v101, v91
	v_mul_f16_e32 v101, 0xbbf1, v60
	v_fma_f16 v102, v67, s14, v101
	v_mul_f16_e32 v103, 0xb3a8, v25
	v_add_f16_sdwa v102, v12, v102 dst_sel:DWORD dst_unused:UNUSED_PAD src0_sel:WORD_1 src1_sel:DWORD
	v_fma_f16 v104, v69, s23, v103
	v_add_f16_e32 v102, v104, v102
	v_mul_f16_sdwa v104, v60, s19 dst_sel:DWORD dst_unused:UNUSED_PAD src0_sel:WORD_1 src1_sel:DWORD
	v_fma_f16 v105, v59, s18, -v104
	v_mul_f16_sdwa v106, v25, s35 dst_sel:DWORD dst_unused:UNUSED_PAD src0_sel:WORD_1 src1_sel:DWORD
	v_add_f16_e32 v105, v12, v105
	v_fma_f16 v107, v13, s20, -v106
	v_add_f16_e32 v105, v107, v105
	v_mul_f16_e32 v107, 0xbb7b, v60
	v_fma_f16 v108, v67, s18, v107
	v_mul_f16_e32 v109, 0x394e, v25
	v_add_f16_sdwa v108, v12, v108 dst_sel:DWORD dst_unused:UNUSED_PAD src0_sel:WORD_1 src1_sel:DWORD
	v_fma_f16 v110, v69, s20, v109
	s_movk_i32 s35, 0x3b7b
	v_add_f16_e32 v108, v110, v108
	v_mul_f16_sdwa v110, v26, s35 dst_sel:DWORD dst_unused:UNUSED_PAD src0_sel:WORD_1 src1_sel:DWORD
	v_fma_f16 v111, v28, s18, -v110
	v_add_f16_e32 v91, v111, v91
	v_mul_f16_e32 v111, 0x3b7b, v26
	v_fma_f16 v112, v89, s18, v111
	v_add_f16_e32 v102, v112, v102
	v_mul_f16_sdwa v112, v26, s24 dst_sel:DWORD dst_unused:UNUSED_PAD src0_sel:WORD_1 src1_sel:DWORD
	v_fma_f16 v113, v28, s16, -v112
	v_add_f16_e32 v105, v113, v105
	v_mul_f16_e32 v113, 0x3770, v26
	v_fma_f16 v114, v89, s16, v113
	;; [unrolled: 6-line block ×8, first 2 shown]
	v_add_f16_e32 v108, v131, v108
	v_pack_b32_f16 v105, v105, v108
	v_pack_b32_f16 v91, v91, v102
	v_pk_add_f16 v39, v58, v39
	v_mul_f16_sdwa v58, v60, s21 dst_sel:DWORD dst_unused:UNUSED_PAD src0_sel:WORD_1 src1_sel:DWORD
	ds_write2_b32 v86, v91, v105 offset0:3 offset1:4
	v_fma_f16 v91, v59, s20, -v58
	v_mul_f16_sdwa v102, v25, s22 dst_sel:DWORD dst_unused:UNUSED_PAD src0_sel:WORD_1 src1_sel:DWORD
	v_add_f16_e32 v91, v12, v91
	v_fma_f16 v105, v13, s14, -v102
	v_add_f16_e32 v91, v105, v91
	v_mul_f16_e32 v105, 0xb94e, v60
	v_fma_f16 v108, v67, s20, v105
	v_mul_f16_e32 v131, 0x3bf1, v25
	v_add_f16_sdwa v108, v12, v108 dst_sel:DWORD dst_unused:UNUSED_PAD src0_sel:WORD_1 src1_sel:DWORD
	v_fma_f16 v132, v69, s14, v131
	v_add_f16_e32 v108, v132, v108
	v_mul_f16_sdwa v132, v26, s27 dst_sel:DWORD dst_unused:UNUSED_PAD src0_sel:WORD_1 src1_sel:DWORD
	v_fma_f16 v133, v28, s17, -v132
	v_add_f16_e32 v91, v133, v91
	v_mul_f16_e32 v133, 0xba95, v26
	v_fma_f16 v134, v89, s17, v133
	v_add_f16_e32 v108, v134, v108
	v_mul_f16_sdwa v134, v62, s34 dst_sel:DWORD dst_unused:UNUSED_PAD src0_sel:WORD_1 src1_sel:DWORD
	v_fma_f16 v135, v27, s23, -v134
	v_add_f16_e32 v91, v135, v91
	v_mul_f16_e32 v135, 0x33a8, v62
	;; [unrolled: 6-line block ×4, first 2 shown]
	v_fma_f16 v140, v88, s18, v139
	v_add_f16_e32 v108, v140, v108
	v_pack_b32_f16 v91, v91, v108
	ds_write2_b32 v86, v39, v91 offset1:5
	v_fma_f16 v39, v67, s17, -v68
	v_fma_f16 v68, v67, s14, -v101
	v_fma_f16 v61, v59, s16, v61
	v_fma_f16 v15, v59, s14, v15
	;; [unrolled: 1-line block ×4, first 2 shown]
	v_pk_mul_f16 v59, v59, s23 op_sel_hi:[1,0]
	v_fma_f16 v91, v67, s18, -v107
	v_fma_f16 v67, v67, s20, -v105
	v_pk_fma_f16 v104, v60, s33, v59 op_sel:[0,0,1] op_sel_hi:[1,0,0] neg_lo:[1,0,0] neg_hi:[1,0,0]
	v_pk_fma_f16 v59, v60, s33, v59 op_sel:[0,0,1] op_sel_hi:[1,0,0]
	v_add_f16_e32 v140, v12, v61
	v_pk_add_f16 v60, v12, v65 op_sel:[1,0] op_sel_hi:[0,1]
	v_add_f16_sdwa v39, v12, v39 dst_sel:DWORD dst_unused:UNUSED_PAD src0_sel:WORD_1 src1_sel:DWORD
	v_add_f16_e32 v15, v12, v15
	v_add_f16_sdwa v61, v12, v68 dst_sel:DWORD dst_unused:UNUSED_PAD src0_sel:WORD_1 src1_sel:DWORD
	v_add_f16_e32 v65, v12, v101
	v_add_f16_sdwa v68, v12, v91 dst_sel:DWORD dst_unused:UNUSED_PAD src0_sel:WORD_1 src1_sel:DWORD
	v_add_f16_e32 v58, v12, v58
	v_add_f16_sdwa v67, v12, v67 dst_sel:DWORD dst_unused:UNUSED_PAD src0_sel:WORD_1 src1_sel:DWORD
	v_add_f16_sdwa v141, v12, v64 dst_sel:DWORD dst_unused:UNUSED_PAD src0_sel:WORD_1 src1_sel:DWORD
	v_pk_add_f16 v64, v12, v104 op_sel:[1,0] op_sel_hi:[0,1]
	v_pk_add_f16 v12, v12, v59 op_sel:[1,0] op_sel_hi:[0,1]
	v_pk_mul_f16 v59, v13, s16 op_sel_hi:[1,0]
	v_pk_fma_f16 v91, v25, s24, v59 op_sel:[0,0,1] op_sel_hi:[1,0,0] neg_lo:[1,0,0] neg_hi:[1,0,0]
	v_pk_fma_f16 v25, v25, s24, v59 op_sel:[0,0,1] op_sel_hi:[1,0,0]
	v_pk_add_f16 v12, v25, v12
	v_pk_mul_f16 v25, v28, s20 op_sel_hi:[1,0]
	v_pk_fma_f16 v59, v26, s21, v25 op_sel:[0,0,1] op_sel_hi:[1,0,0] neg_lo:[1,0,0] neg_hi:[1,0,0]
	v_pk_fma_f16 v25, v26, s21, v25 op_sel:[0,0,1] op_sel_hi:[1,0,0]
	v_pk_add_f16 v12, v25, v12
	v_pk_mul_f16 v25, v27, s17 op_sel_hi:[1,0]
	v_pk_add_f16 v64, v91, v64
	v_pk_fma_f16 v26, v62, s25, v25 op_sel:[0,0,1] op_sel_hi:[1,0,0] neg_lo:[1,0,0] neg_hi:[1,0,0]
	v_pk_fma_f16 v25, v62, s25, v25 op_sel:[0,0,1] op_sel_hi:[1,0,0]
	v_pk_add_f16 v59, v59, v64
	v_pk_add_f16 v12, v25, v12
	v_pk_mul_f16 v25, v16, s18 op_sel_hi:[1,0]
	v_pk_add_f16 v26, v26, v59
	v_pk_fma_f16 v59, v63, s19, v25 op_sel:[0,0,1] op_sel_hi:[1,0,0] neg_lo:[1,0,0] neg_hi:[1,0,0]
	v_pk_fma_f16 v25, v63, s19, v25 op_sel:[0,0,1] op_sel_hi:[1,0,0]
	v_pk_add_f16 v12, v25, v12
	v_pk_mul_f16 v25, v128, s14 op_sel_hi:[1,0]
	v_pk_add_f16 v26, v59, v26
	v_pk_fma_f16 v59, v14, s22, v25 op_sel:[0,0,1] op_sel_hi:[1,0,0] neg_lo:[1,0,0] neg_hi:[1,0,0]
	v_pk_fma_f16 v25, v14, s22, v25 op_sel:[0,0,1] op_sel_hi:[1,0,0]
	v_pk_add_f16 v26, v59, v26
	v_pk_add_f16 v12, v25, v12
	v_alignbit_b32 v25, v26, v12, 16
	v_alignbit_b32 v12, v12, v26, 16
	ds_write2_b32 v86, v12, v25 offset0:6 offset1:7
	v_fma_f16 v12, v13, s20, v106
	v_add_f16_e32 v12, v12, v65
	v_fma_f16 v25, v69, s20, -v109
	v_fma_f16 v59, v28, s16, v112
	v_add_f16_e32 v25, v25, v68
	v_fma_f16 v26, v13, s14, v102
	v_add_f16_e32 v12, v59, v12
	v_fma_f16 v59, v89, s16, -v113
	v_add_f16_e32 v26, v26, v58
	v_fma_f16 v58, v69, s14, -v131
	v_add_f16_e32 v25, v59, v25
	v_fma_f16 v59, v28, s17, v132
	v_add_f16_e32 v58, v58, v67
	v_add_f16_e32 v26, v59, v26
	v_fma_f16 v59, v89, s17, -v133
	v_add_f16_e32 v58, v59, v58
	v_fma_f16 v59, v27, s14, v116
	v_add_f16_e32 v12, v59, v12
	v_fma_f16 v59, v93, s14, -v117
	v_add_f16_e32 v25, v59, v25
	v_fma_f16 v59, v27, s23, v134
	;; [unrolled: 4-line block ×6, first 2 shown]
	v_add_f16_e32 v26, v59, v26
	v_fma_f16 v59, v88, s18, -v139
	v_add_f16_e32 v58, v59, v58
	v_pack_b32_f16 v12, v12, v25
	v_pack_b32_f16 v25, v26, v58
	ds_write2_b32 v86, v25, v12 offset0:8 offset1:9
	v_fma_f16 v25, v69, s18, -v70
	v_add_f16_e32 v25, v25, v39
	v_fma_f16 v26, v13, s23, v100
	v_fma_f16 v39, v89, s23, -v90
	v_add_f16_e32 v15, v26, v15
	v_fma_f16 v26, v69, s23, -v103
	v_add_f16_e32 v25, v39, v25
	v_fma_f16 v39, v28, s18, v110
	v_add_f16_e32 v26, v26, v61
	v_add_f16_e32 v15, v39, v15
	v_fma_f16 v39, v89, s18, -v111
	v_add_f16_e32 v26, v39, v26
	v_fma_f16 v39, v93, s20, -v94
	v_add_f16_e32 v25, v39, v25
	v_fma_f16 v39, v27, s16, v114
	v_add_f16_e32 v15, v39, v15
	v_fma_f16 v39, v93, s16, -v115
	v_add_f16_e32 v26, v39, v26
	v_fma_f16 v39, v96, s14, -v97
	v_pk_add_f16 v12, v66, v60
	v_add_f16_e32 v25, v39, v25
	v_fma_f16 v39, v16, s17, v118
	v_fma_f16 v58, v88, s16, -v99
	v_pk_add_f16 v12, v87, v12
	v_add_f16_e32 v15, v39, v15
	v_add_f16_e32 v25, v58, v25
	v_fma_f16 v58, v128, s20, v122
	v_pk_add_f16 v12, v92, v12
	v_add_f16_e32 v15, v58, v15
	v_pk_mul_f16 v58, v14, s42
	v_mul_f16_e32 v14, 0xb94e, v14
	v_fma_f16 v39, v96, s17, -v119
	v_bfi_b32 v14, s31, v14, v12
	v_pack_b32_f16 v39, v39, v98
	v_bfi_b32 v26, s31, v26, v58
	v_pk_add_f16 v14, v123, v14 neg_lo:[0,1] neg_hi:[0,1]
	v_pk_add_f16 v12, v95, v12
	v_pk_add_f16 v26, v39, v26
	v_bfi_b32 v12, s31, v14, v12
	v_pk_add_f16 v12, v12, v26
	v_alignbit_b32 v14, v25, v12, 16
	v_pack_b32_f16 v12, v15, v12
	ds_write2_b32 v86, v12, v14 offset0:10 offset1:11
	v_mul_f16_sdwa v12, v31, s30 dst_sel:DWORD dst_unused:UNUSED_PAD src0_sel:WORD_1 src1_sel:DWORD
	v_fma_f16 v14, v30, s16, v12
	v_add_f16_e32 v15, v14, v0
	v_mul_f16_sdwa v14, v33, s27 dst_sel:DWORD dst_unused:UNUSED_PAD src0_sel:WORD_1 src1_sel:DWORD
	v_fma_f16 v25, v32, s17, v14
	v_add_f16_e32 v25, v25, v15
	v_lshrrev_b32_e32 v114, 16, v30
	v_mul_f16_e32 v15, 0xba95, v31
	v_fma_f16 v26, v114, s17, -v15
	v_lshrrev_b32_e32 v113, 16, v32
	v_mul_f16_e32 v58, 0xbb7b, v33
	v_add_f16_sdwa v26, v26, v0 dst_sel:DWORD dst_unused:UNUSED_PAD src0_sel:DWORD src1_sel:WORD_1
	v_fma_f16 v39, v113, s18, -v58
	v_mul_f16_sdwa v60, v31, s29 dst_sel:DWORD dst_unused:UNUSED_PAD src0_sel:WORD_1 src1_sel:DWORD
	v_add_f16_e32 v26, v39, v26
	v_fma_f16 v39, v30, s14, v60
	v_mul_f16_sdwa v61, v33, s33 dst_sel:DWORD dst_unused:UNUSED_PAD src0_sel:WORD_1 src1_sel:DWORD
	v_add_f16_e32 v39, v39, v0
	v_fma_f16 v59, v32, s23, v61
	v_mul_f16_e32 v64, 0xbbf1, v31
	v_add_f16_e32 v39, v59, v39
	v_fma_f16 v59, v114, s14, -v64
	v_mul_f16_e32 v65, 0xb3a8, v33
	v_add_f16_sdwa v59, v59, v0 dst_sel:DWORD dst_unused:UNUSED_PAD src0_sel:DWORD src1_sel:WORD_1
	v_fma_f16 v62, v113, s23, -v65
	v_mul_f16_e32 v96, 0xbb7b, v31
	v_add_f16_e32 v62, v62, v59
	v_fma_f16 v59, v114, s18, -v96
	v_mul_f16_e32 v97, 0x394e, v33
	v_add_f16_sdwa v59, v59, v0 dst_sel:DWORD dst_unused:UNUSED_PAD src0_sel:DWORD src1_sel:WORD_1
	v_fma_f16 v63, v113, s20, -v97
	v_mul_f16_e32 v108, 0xb94e, v31
	v_add_f16_e32 v66, v63, v59
	v_fma_f16 v59, v114, s20, -v108
	v_mul_f16_e32 v109, 0x3bf1, v33
	v_add_f16_sdwa v59, v59, v0 dst_sel:DWORD dst_unused:UNUSED_PAD src0_sel:DWORD src1_sel:WORD_1
	v_fma_f16 v63, v113, s14, -v109
	v_add_f16_e32 v68, v63, v59
	v_mul_f16_sdwa v59, v35, s29 dst_sel:DWORD dst_unused:UNUSED_PAD src0_sel:WORD_1 src1_sel:DWORD
	v_fma_f16 v63, v34, s14, v59
	v_add_f16_e32 v25, v63, v25
	v_lshrrev_b32_e32 v118, 16, v34
	v_mul_f16_e32 v63, 0xb3a8, v35
	v_fma_f16 v67, v118, s23, -v63
	v_add_f16_e32 v26, v67, v26
	v_mul_f16_sdwa v67, v35, s35 dst_sel:DWORD dst_unused:UNUSED_PAD src0_sel:WORD_1 src1_sel:DWORD
	v_fma_f16 v69, v34, s18, v67
	v_mul_f16_e32 v70, 0x3b7b, v35
	v_add_f16_e32 v39, v69, v39
	v_fma_f16 v69, v118, s18, -v70
	v_mul_f16_e32 v104, 0x3770, v35
	v_add_f16_e32 v69, v69, v62
	v_fma_f16 v62, v118, s16, -v104
	;; [unrolled: 3-line block ×3, first 2 shown]
	v_add_f16_e32 v87, v62, v68
	v_mul_f16_sdwa v62, v37, s19 dst_sel:DWORD dst_unused:UNUSED_PAD src0_sel:WORD_1 src1_sel:DWORD
	v_fma_f16 v68, v36, s18, v62
	v_add_f16_e32 v25, v68, v25
	v_lshrrev_b32_e32 v120, 16, v36
	v_mul_f16_e32 v68, 0x394e, v37
	v_fma_f16 v88, v120, s20, -v68
	v_mul_f16_sdwa v94, v37, s24 dst_sel:DWORD dst_unused:UNUSED_PAD src0_sel:WORD_1 src1_sel:DWORD
	v_add_f16_e32 v26, v88, v26
	v_fma_f16 v88, v36, s16, v94
	v_mul_f16_e32 v98, 0x3770, v37
	v_add_f16_e32 v39, v88, v39
	v_fma_f16 v88, v120, s16, -v98
	v_mul_f16_e32 v111, 0xbbf1, v37
	v_add_f16_e32 v69, v88, v69
	v_fma_f16 v88, v120, s14, -v111
	;; [unrolled: 3-line block ×3, first 2 shown]
	v_add_f16_e32 v87, v66, v87
	v_mul_f16_sdwa v66, v41, s21 dst_sel:DWORD dst_unused:UNUSED_PAD src0_sel:WORD_1 src1_sel:DWORD
	v_fma_f16 v89, v40, s20, v66
	v_lshrrev_b32_e32 v122, 16, v40
	v_mul_f16_e32 v95, 0x3bf1, v41
	v_add_f16_e32 v25, v89, v25
	v_fma_f16 v89, v122, s14, -v95
	v_mul_f16_sdwa v100, v41, s27 dst_sel:DWORD dst_unused:UNUSED_PAD src0_sel:WORD_1 src1_sel:DWORD
	v_fma_f16 v13, v13, s17, v17
	v_add_f16_e32 v89, v89, v26
	v_fma_f16 v26, v40, s17, v100
	v_mul_f16_e32 v107, 0xba95, v41
	v_add_f16_e32 v13, v13, v140
	v_fma_f16 v17, v28, s14, v55
	v_add_f16_e32 v26, v26, v39
	v_fma_f16 v39, v122, s17, -v107
	v_mul_f16_e32 v116, 0x33a8, v41
	v_add_f16_e32 v13, v17, v13
	v_fma_f16 v17, v27, s18, v57
	v_add_f16_e32 v39, v39, v69
	v_fma_f16 v69, v122, s23, -v116
	;; [unrolled: 5-line block ×3, first 2 shown]
	v_add_f16_e32 v13, v16, v13
	v_fma_f16 v16, v128, s23, v129
	v_add_f16_e32 v87, v69, v87
	v_mul_f16_sdwa v69, v44, s33 dst_sel:DWORD dst_unused:UNUSED_PAD src0_sel:WORD_1 src1_sel:DWORD
	v_pk_mul_f16 v93, v30, s26
	v_add_f16_e32 v13, v16, v13
	v_add_f16_e32 v16, v18, v141
	v_fma_f16 v88, v42, s23, v69
	v_pk_fma_f16 v99, v31, s12, v93 op_sel:[0,0,1] op_sel_hi:[1,1,0]
	v_pk_mul_f16 v131, v32, s28
	v_add_f16_e32 v16, v19, v16
	v_add_f16_e32 v88, v88, v25
	v_pk_fma_f16 v101, v33, s13, v131 op_sel:[0,0,1] op_sel_hi:[1,1,0]
	v_add_f16_sdwa v25, v99, v0 dst_sel:DWORD dst_unused:UNUSED_PAD src0_sel:WORD_1 src1_sel:DWORD
	v_pk_mul_f16 v132, v34, s39
	v_add_f16_e32 v16, v56, v16
	v_add_f16_sdwa v25, v101, v25 dst_sel:DWORD dst_unused:UNUSED_PAD src0_sel:WORD_1 src1_sel:DWORD
	v_pk_fma_f16 v102, v35, s36, v132 op_sel:[0,0,1] op_sel_hi:[1,1,0]
	v_pk_mul_f16 v133, v36, s40
	v_add_f16_e32 v16, v127, v16
	v_add_f16_sdwa v25, v102, v25 dst_sel:DWORD dst_unused:UNUSED_PAD src0_sel:WORD_1 src1_sel:DWORD
	v_pk_fma_f16 v103, v37, s37, v133 op_sel:[0,0,1] op_sel_hi:[1,1,0]
	;; [unrolled: 4-line block ×3, first 2 shown]
	v_mul_f16_sdwa v112, v44, s21 dst_sel:DWORD dst_unused:UNUSED_PAD src0_sel:WORD_1 src1_sel:DWORD
	v_pk_mul_f16 v135, v42, s43
	v_pack_b32_f16 v13, v13, v16
	v_add_f16_sdwa v90, v105, v25 dst_sel:DWORD dst_unused:UNUSED_PAD src0_sel:WORD_1 src1_sel:DWORD
	v_fma_f16 v25, v42, s20, v112
	v_pk_fma_f16 v106, v44, s42, v135 op_sel:[0,0,1] op_sel_hi:[1,1,0]
	v_lshrrev_b32_e32 v125, 16, v42
	v_mul_f16_e32 v110, 0x3770, v44
	ds_write_b32 v86, v13 offset:48
	v_pk_fma_f16 v13, v31, s12, v93 op_sel:[0,0,1] op_sel_hi:[1,1,0] neg_lo:[1,0,0] neg_hi:[1,0,0]
	v_add_f16_e32 v25, v25, v26
	v_add_f16_sdwa v26, v106, v90 dst_sel:DWORD dst_unused:UNUSED_PAD src0_sel:WORD_1 src1_sel:DWORD
	v_fma_f16 v90, v125, s16, -v110
	v_mul_f16_e32 v117, 0xb94e, v44
	v_pk_fma_f16 v16, v33, s13, v131 op_sel:[0,0,1] op_sel_hi:[1,1,0] neg_lo:[1,0,0] neg_hi:[1,0,0]
	v_add_f16_sdwa v28, v13, v0 dst_sel:DWORD dst_unused:UNUSED_PAD src0_sel:DWORD src1_sel:WORD_1
	v_add_f16_e32 v89, v90, v89
	v_fma_f16 v90, v125, s20, -v117
	v_mul_f16_e32 v123, 0x3a95, v44
	v_pk_fma_f16 v17, v35, s36, v132 op_sel:[0,0,1] op_sel_hi:[1,1,0] neg_lo:[1,0,0] neg_hi:[1,0,0]
	v_add_f16_e32 v28, v16, v28
	v_add_f16_e32 v90, v90, v39
	v_fma_f16 v39, v125, s17, -v123
	v_mul_f16_e32 v124, 0xbb7b, v44
	v_pk_fma_f16 v18, v37, s37, v133 op_sel:[0,0,1] op_sel_hi:[1,1,0] neg_lo:[1,0,0] neg_hi:[1,0,0]
	v_add_f16_e32 v28, v17, v28
	v_add_f16_e32 v91, v39, v91
	v_fma_f16 v39, v125, s18, -v124
	s_movk_i32 s26, 0x5b
	v_pk_fma_f16 v19, v41, s38, v134 op_sel:[0,0,1] op_sel_hi:[1,1,0] neg_lo:[1,0,0] neg_hi:[1,0,0]
	v_add_f16_e32 v28, v18, v28
	v_add_f16_e32 v92, v39, v87
	v_pk_fma_f16 v27, v44, s42, v135 op_sel:[0,0,1] op_sel_hi:[1,1,0] neg_lo:[1,0,0] neg_hi:[1,0,0]
	v_add_f16_e32 v28, v19, v28
	v_add_co_u32_e32 v39, vcc, s26, v83
	v_add_f16_e32 v93, v27, v28
	v_mul_u32_u24_e32 v87, 13, v39
	s_and_saveexec_b64 s[12:13], s[0:1]
	s_cbranch_execz .LBB0_7
; %bb.6:
	v_mul_f16_e32 v127, 0xb5ac, v30
	v_mul_f16_e32 v134, 0xb9fd, v32
	v_sub_f16_e32 v38, v127, v38
	v_mul_f16_e32 v129, 0xb9fd, v30
	v_mul_f16_e32 v141, 0x3b15, v34
	v_add_f16_e32 v38, v38, v0
	v_sub_f16_e32 v45, v134, v45
	v_mul_f16_e32 v136, 0x2fb7, v32
	v_mul_f16_e32 v148, 0x2fb7, v36
	v_sub_f16_e32 v43, v129, v43
	v_add_f16_e32 v38, v45, v38
	v_sub_f16_e32 v45, v141, v47
	v_mul_f16_e32 v143, 0x388b, v34
	v_mul_f16_e32 v155, 0xbbc4, v40
	v_add_f16_e32 v43, v43, v0
	v_sub_f16_e32 v46, v136, v46
	v_add_f16_e32 v38, v45, v38
	v_sub_f16_e32 v45, v148, v49
	v_mul_f16_e32 v150, 0xbbc4, v36
	v_mul_f16_e32 v162, 0x388b, v42
	v_add_f16_e32 v43, v46, v43
	;; [unrolled: 6-line block ×3, first 2 shown]
	v_sub_f16_e32 v46, v150, v50
	v_add_f16_e32 v38, v45, v38
	v_sub_f16_e32 v45, v162, v53
	v_alignbit_b32 v28, v0, v0, 16
	v_mul_f16_e32 v133, 0xbbc4, v113
	v_mul_f16_e32 v164, 0xb5ac, v42
	v_add_f16_e32 v43, v46, v43
	v_sub_f16_e32 v46, v157, v52
	v_add_f16_e32 v38, v45, v38
	v_add_f16_e32 v45, v64, v126
	v_mul_f16_e32 v128, 0xb5ac, v114
	v_mul_f16_e32 v140, 0xb5ac, v118
	v_add_f16_e32 v43, v46, v43
	v_sub_f16_e32 v46, v164, v54
	v_add_f16_sdwa v45, v45, v0 dst_sel:DWORD dst_unused:UNUSED_PAD src0_sel:DWORD src1_sel:WORD_1
	v_add_f16_e32 v47, v65, v133
	v_pk_add_f16 v1, v1, v28 op_sel:[0,1] op_sel_hi:[1,0]
	v_mul_f16_e32 v135, 0xb9fd, v113
	v_mul_f16_e32 v147, 0x3b15, v120
	v_add_f16_e32 v43, v46, v43
	v_add_f16_e32 v46, v96, v128
	;; [unrolled: 1-line block ×4, first 2 shown]
	v_pk_add_f16 v1, v2, v1
	v_mul_f16_e32 v142, 0x3b15, v118
	v_mul_f16_e32 v154, 0x388b, v122
	v_add_f16_sdwa v46, v46, v0 dst_sel:DWORD dst_unused:UNUSED_PAD src0_sel:DWORD src1_sel:WORD_1
	v_add_f16_e32 v48, v97, v135
	v_add_f16_e32 v45, v47, v45
	;; [unrolled: 1-line block ×3, first 2 shown]
	v_pk_add_f16 v1, v3, v1
	v_mul_f16_e32 v149, 0x2fb7, v120
	v_mul_f16_e32 v161, 0xb9fd, v125
	v_add_f16_e32 v46, v48, v46
	v_add_f16_e32 v48, v104, v142
	;; [unrolled: 1-line block ×4, first 2 shown]
	v_pk_add_f16 v1, v4, v1
	v_mul_f16_e32 v55, 0x3b15, v30
	v_mul_f16_e32 v56, 0x388b, v114
	;; [unrolled: 1-line block ×5, first 2 shown]
	v_add_f16_e32 v46, v48, v46
	v_add_f16_e32 v48, v111, v149
	;; [unrolled: 1-line block ×4, first 2 shown]
	v_pk_add_f16 v1, v5, v1
	v_mul_f16_e32 v130, 0x388b, v32
	v_mul_f16_e32 v163, 0x388b, v125
	v_add_f16_e32 v108, v108, v114
	v_add_f16_e32 v46, v48, v46
	;; [unrolled: 1-line block ×4, first 2 shown]
	v_sub_f16_e32 v47, v57, v60
	v_add_f16_e32 v15, v15, v56
	v_sub_f16_e32 v12, v55, v12
	v_pk_add_f16 v1, v6, v1
	v_mul_f16_e32 v132, 0xbbc4, v32
	v_mul_f16_e32 v137, 0x2fb7, v34
	v_add_f16_sdwa v108, v108, v0 dst_sel:DWORD dst_unused:UNUSED_PAD src0_sel:DWORD src1_sel:WORD_1
	v_add_f16_e32 v46, v48, v46
	v_add_f16_e32 v48, v123, v163
	;; [unrolled: 1-line block ×3, first 2 shown]
	v_add_f16_sdwa v15, v15, v0 dst_sel:DWORD dst_unused:UNUSED_PAD src0_sel:DWORD src1_sel:WORD_1
	v_add_f16_e32 v0, v12, v0
	v_sub_f16_e32 v12, v130, v14
	v_pk_add_f16 v1, v7, v1
	v_mul_f16_e32 v139, 0xb5ac, v34
	v_mul_f16_e32 v144, 0xb5ac, v36
	v_add_f16_e32 v46, v48, v46
	v_sub_f16_e32 v48, v132, v61
	v_add_f16_e32 v0, v12, v0
	v_sub_f16_e32 v12, v137, v59
	v_pk_add_f16 v1, v8, v1
	v_mul_f16_e32 v146, 0x3b15, v36
	v_mul_f16_e32 v151, 0xb9fd, v40
	v_add_f16_e32 v47, v48, v47
	v_sub_f16_e32 v48, v139, v67
	;; [unrolled: 7-line block ×3, first 2 shown]
	v_add_f16_e32 v0, v12, v0
	v_sub_f16_e32 v12, v151, v66
	v_pk_add_f16 v1, v10, v1
	v_mul_f16_e32 v160, 0xb9fd, v42
	v_add_f16_e32 v47, v48, v47
	v_sub_f16_e32 v48, v153, v100
	v_add_f16_e32 v0, v12, v0
	v_sub_f16_e32 v12, v158, v69
	v_pk_add_f16 v1, v11, v1
	v_mul_f16_e32 v131, 0xb5ac, v113
	v_add_f16_e32 v47, v48, v47
	v_sub_f16_e32 v48, v160, v112
	v_bfi_b32 v13, s31, v99, v13
	v_add_f16_e32 v0, v12, v0
	v_lshlrev_b32_e32 v12, 2, v87
	v_pk_add_f16 v1, v29, v1
	v_mul_f16_e32 v138, 0xbbc4, v118
	v_add_f16_e32 v47, v48, v47
	v_add_f16_e32 v48, v58, v131
	v_bfi_b32 v16, s31, v101, v16
	ds_write_b32 v12, v1
	v_pk_add_f16 v1, v13, v28
	v_mul_f16_e32 v145, 0xb9fd, v120
	v_add_f16_e32 v15, v48, v15
	v_add_f16_e32 v48, v63, v138
	v_bfi_b32 v17, s31, v102, v17
	v_pk_add_f16 v1, v16, v1
	v_mul_f16_e32 v152, 0x2fb7, v122
	v_add_f16_e32 v15, v48, v15
	v_add_f16_e32 v48, v68, v145
	v_bfi_b32 v18, s31, v103, v18
	;; [unrolled: 5-line block ×3, first 2 shown]
	v_pk_add_f16 v1, v18, v1
	v_add_f16_e32 v15, v48, v15
	v_add_f16_e32 v48, v110, v159
	v_bfi_b32 v27, s31, v106, v27
	v_pk_add_f16 v1, v19, v1
	v_add_f16_e32 v15, v48, v15
	v_pk_add_f16 v1, v27, v1
	v_alignbit_b32 v2, v15, v1, 16
	v_pack_b32_f16 v0, v0, v1
	ds_write2_b32 v12, v0, v2 offset0:1 offset1:2
	v_pack_b32_f16 v0, v38, v46
	v_pack_b32_f16 v1, v47, v45
	ds_write2_b32 v12, v1, v0 offset0:3 offset1:4
	v_pk_mul_f16 v0, v31, s33 op_sel_hi:[1,0]
	v_pk_fma_f16 v1, v30, s23, v0 op_sel:[0,0,1] op_sel_hi:[1,0,0] neg_lo:[0,0,1] neg_hi:[0,0,1]
	v_pk_fma_f16 v0, v30, s23, v0 op_sel:[0,0,1] op_sel_hi:[1,0,0]
	v_pk_mul_f16 v3, v33, s24 op_sel_hi:[1,0]
	v_bfi_b32 v2, s31, v1, v0
	v_pk_fma_f16 v4, v32, s16, v3 op_sel:[0,0,1] op_sel_hi:[1,0,0] neg_lo:[0,0,1] neg_hi:[0,0,1]
	v_pk_fma_f16 v3, v32, s16, v3 op_sel:[0,0,1] op_sel_hi:[1,0,0]
	v_pk_add_f16 v2, v2, v28 op_sel:[0,1] op_sel_hi:[1,0]
	v_bfi_b32 v5, s31, v4, v3
	v_pk_add_f16 v2, v5, v2
	v_pk_mul_f16 v5, v35, s21 op_sel_hi:[1,0]
	v_pk_fma_f16 v6, v34, s20, v5 op_sel:[0,0,1] op_sel_hi:[1,0,0] neg_lo:[0,0,1] neg_hi:[0,0,1]
	v_pk_fma_f16 v5, v34, s20, v5 op_sel:[0,0,1] op_sel_hi:[1,0,0]
	v_bfi_b32 v7, s31, v6, v5
	v_pk_add_f16 v2, v7, v2
	v_pk_mul_f16 v7, v37, s25 op_sel_hi:[1,0]
	v_pk_fma_f16 v8, v36, s17, v7 op_sel:[0,0,1] op_sel_hi:[1,0,0] neg_lo:[0,0,1] neg_hi:[0,0,1]
	v_pk_fma_f16 v7, v36, s17, v7 op_sel:[0,0,1] op_sel_hi:[1,0,0]
	v_bfi_b32 v9, s31, v8, v7
	v_pk_add_f16 v2, v9, v2
	v_pk_mul_f16 v9, v41, s19 op_sel_hi:[1,0]
	v_bfi_b32 v0, s31, v0, v1
	v_mul_f16_e32 v113, 0x2fb7, v113
	v_pk_fma_f16 v10, v40, s18, v9 op_sel:[0,0,1] op_sel_hi:[1,0,0] neg_lo:[0,0,1] neg_hi:[0,0,1]
	v_pk_fma_f16 v9, v40, s18, v9 op_sel:[0,0,1] op_sel_hi:[1,0,0]
	v_pk_add_f16 v0, v0, v28 op_sel:[0,1] op_sel_hi:[1,0]
	v_bfi_b32 v1, s31, v3, v4
	v_mul_f16_e32 v118, 0x388b, v118
	v_add_f16_e32 v109, v109, v113
	v_bfi_b32 v11, s31, v10, v9
	v_pk_add_f16 v0, v1, v0
	v_bfi_b32 v1, s31, v5, v6
	v_mul_f16_e32 v120, 0xbbc4, v120
	v_add_f16_e32 v108, v109, v108
	v_add_f16_e32 v109, v115, v118
	v_pk_add_f16 v2, v11, v2
	v_pk_mul_f16 v11, v44, s22 op_sel_hi:[1,0]
	v_pk_add_f16 v0, v1, v0
	v_bfi_b32 v1, s31, v7, v8
	v_mul_f16_e32 v122, 0x3b15, v122
	v_add_f16_e32 v108, v109, v108
	v_add_f16_e32 v109, v119, v120
	v_pk_fma_f16 v13, v42, s14, v11 op_sel:[0,0,1] op_sel_hi:[1,0,0] neg_lo:[0,0,1] neg_hi:[0,0,1]
	v_pk_fma_f16 v11, v42, s14, v11 op_sel:[0,0,1] op_sel_hi:[1,0,0]
	v_pk_add_f16 v0, v1, v0
	v_bfi_b32 v1, s31, v9, v10
	v_mul_f16_e32 v125, 0xb5ac, v125
	v_add_f16_e32 v108, v109, v108
	v_add_f16_e32 v109, v121, v122
	v_pk_add_f16 v0, v1, v0
	v_bfi_b32 v1, s31, v11, v13
	s_mov_b32 s14, 0x5040100
	v_add_f16_e32 v108, v109, v108
	v_add_f16_e32 v109, v124, v125
	v_pk_add_f16 v0, v1, v0
	v_perm_b32 v1, v92, v23, s14
	v_add_f16_e32 v108, v109, v108
	v_bfi_b32 v14, s31, v13, v11
	ds_write2_b32 v12, v0, v1 offset0:7 offset1:8
	v_perm_b32 v0, v90, v25, s14
	v_perm_b32 v1, v91, v24, s14
	v_pk_add_f16 v2, v14, v2
	v_pack_b32_f16 v14, v43, v108
	ds_write2_b32 v12, v1, v0 offset0:9 offset1:10
	v_perm_b32 v0, v93, v88, s14
	v_perm_b32 v1, v89, v26, s14
	ds_write2_b32 v12, v14, v2 offset0:5 offset1:6
	ds_write2_b32 v12, v1, v0 offset0:11 offset1:12
.LBB0_7:
	s_or_b64 exec, exec, s[12:13]
	s_movk_i32 s12, 0x4f
	v_mul_lo_u16_sdwa v0, v83, s12 dst_sel:DWORD dst_unused:UNUSED_PAD src0_sel:BYTE_0 src1_sel:DWORD
	v_lshrrev_b16_e32 v40, 10, v0
	v_mul_lo_u16_e32 v0, 13, v40
	v_sub_u16_e32 v0, v83, v0
	v_and_b32_e32 v48, 0xff, v0
	v_mul_u32_u24_e32 v0, 6, v48
	v_lshlrev_b32_e32 v4, 2, v0
	s_waitcnt lgkmcnt(0)
	s_barrier
	global_load_dwordx4 v[0:3], v4, s[4:5]
	global_load_dwordx2 v[27:28], v4, s[4:5] offset:16
	v_mul_lo_u16_sdwa v4, v39, s12 dst_sel:DWORD dst_unused:UNUSED_PAD src0_sel:BYTE_0 src1_sel:DWORD
	v_lshrrev_b16_e32 v49, 10, v4
	v_mul_lo_u16_e32 v4, 13, v49
	v_sub_u16_e32 v4, v39, v4
	v_and_b32_e32 v50, 0xff, v4
	v_mul_u32_u24_e32 v4, 6, v50
	v_lshlrev_b32_e32 v8, 2, v4
	global_load_dwordx4 v[4:7], v8, s[4:5]
	global_load_dwordx2 v[29:30], v8, s[4:5] offset:16
	s_movk_i32 s12, 0xb6
	s_movk_i32 s13, 0x4ec5
	v_add_co_u32_e32 v41, vcc, s12, v83
	v_mul_u32_u24_sdwa v8, v41, s13 dst_sel:DWORD dst_unused:UNUSED_PAD src0_sel:WORD_0 src1_sel:DWORD
	v_lshrrev_b32_e32 v51, 18, v8
	v_mul_lo_u16_e32 v8, 13, v51
	v_sub_u16_e32 v52, v41, v8
	v_mul_lo_u16_e32 v8, 6, v52
	v_lshlrev_b32_e32 v31, 2, v8
	global_load_dwordx4 v[8:11], v31, s[4:5]
	ds_read2_b32 v[12:13], v71 offset1:91
	v_add_u32_e32 v60, 0x200, v71
	v_add_u32_e32 v61, 0x800, v71
	;; [unrolled: 1-line block ×9, first 2 shown]
	ds_read_b32 v53, v71 offset:7280
	ds_read2_b32 v[14:15], v60 offset0:54 offset1:145
	ds_read2_b32 v[16:17], v61 offset0:34 offset1:125
	;; [unrolled: 1-line block ×9, first 2 shown]
	global_load_dwordx2 v[31:32], v31, s[4:5] offset:16
	s_waitcnt lgkmcnt(8)
	v_lshrrev_b32_e32 v55, 16, v15
	s_waitcnt lgkmcnt(4)
	v_lshrrev_b32_e32 v67, 16, v36
	;; [unrolled: 2-line block ×4, first 2 shown]
	v_lshrrev_b32_e32 v94, 16, v17
	s_waitcnt lgkmcnt(1)
	v_lshrrev_b32_e32 v95, 16, v44
	v_lshrrev_b32_e32 v96, 16, v34
	s_waitcnt lgkmcnt(0)
	v_lshrrev_b32_e32 v97, 16, v46
	v_lshrrev_b32_e32 v98, 16, v38
	;; [unrolled: 1-line block ×11, first 2 shown]
	s_movk_i32 s13, 0x2b26
	s_movk_i32 s12, 0x3b00
	s_mov_b32 s14, 0xbcab
	s_movk_i32 s16, 0x39e0
	s_mov_b32 s18, 0xb9e0
	;; [unrolled: 2-line block ×3, first 2 shown]
	s_movk_i32 s17, 0x370e
	v_mul_u32_u24_e32 v40, 0x5b, v40
	s_waitcnt vmcnt(0)
	s_barrier
	s_movk_i32 s21, 0x6817
	v_lshlrev_b32_e32 v39, 3, v39
	v_mul_f16_sdwa v104, v55, v0 dst_sel:DWORD dst_unused:UNUSED_PAD src0_sel:DWORD src1_sel:WORD_1
	v_mul_f16_sdwa v112, v67, v27 dst_sel:DWORD dst_unused:UNUSED_PAD src0_sel:DWORD src1_sel:WORD_1
	v_mul_f16_sdwa v105, v15, v0 dst_sel:DWORD dst_unused:UNUSED_PAD src0_sel:DWORD src1_sel:WORD_1
	v_fma_f16 v15, v15, v0, -v104
	v_fma_f16 v104, v36, v27, -v112
	v_mul_f16_sdwa v36, v36, v27 dst_sel:DWORD dst_unused:UNUSED_PAD src0_sel:DWORD src1_sel:WORD_1
	v_fma_f16 v36, v67, v27, v36
	v_mul_f16_sdwa v67, v68, v28 dst_sel:DWORD dst_unused:UNUSED_PAD src0_sel:DWORD src1_sel:WORD_1
	v_fma_f16 v67, v37, v28, -v67
	v_mul_f16_sdwa v37, v37, v28 dst_sel:DWORD dst_unused:UNUSED_PAD src0_sel:DWORD src1_sel:WORD_1
	v_fma_f16 v37, v68, v28, v37
	v_mul_f16_sdwa v68, v70, v4 dst_sel:DWORD dst_unused:UNUSED_PAD src0_sel:DWORD src1_sel:WORD_1
	;; [unrolled: 4-line block ×12, first 2 shown]
	v_fma_f16 v102, v47, v31, -v102
	v_mul_f16_sdwa v47, v47, v31 dst_sel:DWORD dst_unused:UNUSED_PAD src0_sel:DWORD src1_sel:WORD_1
	v_mul_f16_sdwa v106, v56, v1 dst_sel:DWORD dst_unused:UNUSED_PAD src0_sel:DWORD src1_sel:WORD_1
	;; [unrolled: 1-line block ×3, first 2 shown]
	v_fma_f16 v47, v103, v31, v47
	v_mul_f16_sdwa v103, v54, v32 dst_sel:DWORD dst_unused:UNUSED_PAD src0_sel:DWORD src1_sel:WORD_1
	v_mul_f16_sdwa v108, v57, v2 dst_sel:DWORD dst_unused:UNUSED_PAD src0_sel:DWORD src1_sel:WORD_1
	;; [unrolled: 1-line block ×5, first 2 shown]
	v_fma_f16 v55, v55, v0, v105
	v_fma_f16 v16, v16, v1, -v106
	v_fma_f16 v56, v56, v1, v107
	v_fma_f16 v103, v53, v32, -v103
	v_mul_f16_sdwa v53, v53, v32 dst_sel:DWORD dst_unused:UNUSED_PAD src0_sel:DWORD src1_sel:WORD_1
	v_fma_f16 v19, v19, v2, -v108
	v_fma_f16 v57, v57, v2, v109
	v_fma_f16 v33, v33, v3, -v110
	v_fma_f16 v58, v58, v3, v111
	v_fma_f16 v53, v54, v32, v53
	v_add_f16_e32 v54, v15, v67
	v_add_f16_e32 v105, v55, v37
	v_sub_f16_e32 v15, v15, v67
	v_sub_f16_e32 v37, v55, v37
	v_add_f16_e32 v55, v16, v104
	v_add_f16_e32 v67, v56, v36
	v_sub_f16_e32 v16, v16, v104
	v_sub_f16_e32 v36, v56, v36
	;; [unrolled: 4-line block ×4, first 2 shown]
	v_sub_f16_e32 v54, v54, v56
	v_sub_f16_e32 v105, v105, v104
	;; [unrolled: 1-line block ×4, first 2 shown]
	v_add_f16_e32 v108, v19, v16
	v_add_f16_e32 v109, v33, v36
	v_sub_f16_e32 v110, v19, v16
	v_sub_f16_e32 v111, v33, v36
	;; [unrolled: 1-line block ×4, first 2 shown]
	v_add_f16_e32 v56, v56, v57
	v_add_f16_e32 v57, v104, v58
	v_sub_f16_e32 v19, v15, v19
	v_sub_f16_e32 v33, v37, v33
	v_add_f16_e32 v15, v108, v15
	v_add_f16_e32 v37, v109, v37
	v_add_f16_e32 v58, v12, v56
	v_add_f16_sdwa v12, v12, v57 dst_sel:DWORD dst_unused:UNUSED_PAD src0_sel:WORD_1 src1_sel:DWORD
	v_mul_f16_e32 v54, 0x3a52, v54
	v_mul_f16_e32 v104, 0x3a52, v105
	;; [unrolled: 1-line block ×8, first 2 shown]
	v_fma_f16 v56, v56, s14, v58
	v_fma_f16 v57, v57, s14, v12
	;; [unrolled: 1-line block ×4, first 2 shown]
	v_fma_f16 v105, v106, s16, -v105
	v_fma_f16 v108, v107, s16, -v108
	;; [unrolled: 1-line block ×4, first 2 shown]
	v_fma_f16 v106, v19, s19, v109
	v_fma_f16 v107, v33, s19, v110
	v_fma_f16 v16, v16, s12, -v109
	v_fma_f16 v19, v19, s20, -v111
	v_fma_f16 v33, v33, s20, -v112
	v_fma_f16 v36, v36, s12, -v110
	v_add_f16_e32 v55, v55, v56
	v_add_f16_e32 v67, v67, v57
	;; [unrolled: 1-line block ×6, first 2 shown]
	v_fma_f16 v57, v15, s17, v106
	v_fma_f16 v104, v37, s17, v107
	;; [unrolled: 1-line block ×6, first 2 shown]
	v_add_f16_e32 v33, v104, v55
	v_sub_f16_e32 v37, v67, v57
	v_add_f16_e32 v106, v19, v54
	v_sub_f16_e32 v107, v56, v15
	v_sub_f16_e32 v19, v54, v19
	v_add_f16_e32 v15, v15, v56
	v_sub_f16_e32 v54, v55, v104
	v_add_f16_e32 v55, v57, v67
	v_add_f16_e32 v56, v68, v97
	;; [unrolled: 1-line block ×3, first 2 shown]
	v_sub_f16_e32 v67, v68, v97
	v_sub_f16_e32 v38, v42, v38
	v_add_f16_e32 v42, v70, v96
	v_add_f16_e32 v68, v17, v46
	v_sub_f16_e32 v70, v70, v96
	v_sub_f16_e32 v17, v17, v46
	v_add_f16_e32 v46, v94, v95
	v_add_f16_e32 v96, v44, v34
	;; [unrolled: 4-line block ×3, first 2 shown]
	v_sub_f16_e32 v109, v105, v36
	v_add_f16_e32 v110, v16, v108
	v_add_f16_e32 v36, v36, v105
	v_sub_f16_e32 v16, v108, v16
	v_sub_f16_e32 v97, v42, v56
	;; [unrolled: 1-line block ×7, first 2 shown]
	v_add_f16_e32 v105, v94, v70
	v_add_f16_e32 v108, v34, v17
	v_sub_f16_e32 v111, v94, v70
	v_sub_f16_e32 v112, v34, v17
	;; [unrolled: 1-line block ×4, first 2 shown]
	v_add_f16_e32 v44, v46, v44
	v_add_f16_e32 v46, v96, v95
	v_sub_f16_e32 v94, v67, v94
	v_sub_f16_e32 v34, v38, v34
	v_add_f16_e32 v67, v105, v67
	v_add_f16_e32 v38, v108, v38
	;; [unrolled: 1-line block ×3, first 2 shown]
	v_add_f16_sdwa v13, v13, v46 dst_sel:DWORD dst_unused:UNUSED_PAD src0_sel:WORD_1 src1_sel:DWORD
	v_mul_f16_e32 v56, 0x3a52, v56
	v_mul_f16_e32 v57, 0x3a52, v57
	;; [unrolled: 1-line block ×8, first 2 shown]
	v_fma_f16 v44, v44, s14, v96
	v_fma_f16 v46, v46, s14, v13
	;; [unrolled: 1-line block ×4, first 2 shown]
	v_fma_f16 v95, v97, s16, -v95
	v_fma_f16 v105, v104, s16, -v105
	;; [unrolled: 1-line block ×4, first 2 shown]
	v_fma_f16 v97, v94, s19, v108
	v_fma_f16 v104, v34, s19, v111
	v_fma_f16 v70, v70, s12, -v108
	v_fma_f16 v94, v94, s20, -v112
	;; [unrolled: 1-line block ×4, first 2 shown]
	v_add_f16_e32 v42, v42, v44
	v_add_f16_e32 v68, v68, v46
	;; [unrolled: 1-line block ×6, first 2 shown]
	v_fma_f16 v56, v67, s17, v97
	v_fma_f16 v57, v38, s17, v104
	v_fma_f16 v70, v67, s17, v70
	v_fma_f16 v67, v67, s17, v94
	v_fma_f16 v34, v38, s17, v34
	v_fma_f16 v17, v38, s17, v17
	v_add_f16_e32 v38, v57, v42
	v_sub_f16_e32 v97, v68, v56
	v_add_f16_e32 v104, v34, v44
	v_sub_f16_e32 v108, v46, v67
	v_sub_f16_e32 v34, v44, v34
	v_add_f16_e32 v44, v67, v46
	v_sub_f16_e32 v42, v42, v57
	v_add_f16_e32 v46, v56, v68
	v_add_f16_e32 v56, v98, v103
	;; [unrolled: 1-line block ×3, first 2 shown]
	v_sub_f16_e32 v43, v43, v53
	v_add_f16_e32 v53, v99, v102
	v_add_f16_e32 v68, v18, v47
	v_sub_f16_e32 v111, v95, v17
	v_add_f16_e32 v17, v17, v95
	v_sub_f16_e32 v67, v98, v103
	v_sub_f16_e32 v94, v99, v102
	;; [unrolled: 1-line block ×3, first 2 shown]
	v_add_f16_e32 v47, v100, v101
	v_add_f16_e32 v95, v45, v35
	v_sub_f16_e32 v98, v101, v100
	v_sub_f16_e32 v35, v35, v45
	v_add_f16_e32 v45, v53, v56
	v_add_f16_e32 v99, v68, v57
	;; [unrolled: 1-line block ×3, first 2 shown]
	v_sub_f16_e32 v70, v105, v70
	v_sub_f16_e32 v100, v53, v56
	;; [unrolled: 1-line block ×6, first 2 shown]
	v_add_f16_e32 v102, v98, v94
	v_add_f16_e32 v103, v35, v18
	v_sub_f16_e32 v105, v98, v94
	v_add_f16_e32 v45, v47, v45
	v_add_f16_e32 v47, v95, v99
	v_sub_f16_e32 v113, v35, v18
	v_sub_f16_e32 v98, v67, v98
	;; [unrolled: 1-line block ×5, first 2 shown]
	v_add_f16_e32 v67, v102, v67
	v_add_f16_e32 v43, v103, v43
	;; [unrolled: 1-line block ×3, first 2 shown]
	v_add_f16_sdwa v14, v14, v47 dst_sel:DWORD dst_unused:UNUSED_PAD src0_sel:WORD_1 src1_sel:DWORD
	v_mul_f16_e32 v102, 0x2b26, v68
	v_mul_f16_e32 v103, 0xb846, v105
	v_sub_f16_e32 v57, v57, v95
	v_mul_f16_e32 v105, 0xb846, v113
	v_mul_f16_e32 v113, 0x3b00, v94
	v_fma_f16 v47, v47, s14, v14
	v_fma_f16 v102, v101, s16, -v102
	v_fma_f16 v94, v94, s12, -v103
	v_mul_f16_e32 v57, 0x3a52, v57
	v_add_f16_e32 v102, v102, v47
	v_fma_f16 v94, v67, s17, v94
	v_mul_f16_e32 v114, 0x3b00, v18
	v_fma_f16 v68, v68, s13, v57
	v_fma_f16 v57, v101, s18, -v57
	v_fma_f16 v101, v35, s19, v105
	v_fma_f16 v18, v18, s12, -v105
	v_add_f16_e32 v105, v94, v102
	v_sub_f16_e32 v102, v102, v94
	v_add_lshl_u32 v94, v40, v48, 2
	v_pack_b32_f16 v12, v58, v12
	v_pack_b32_f16 v33, v33, v37
	ds_write2_b32 v94, v12, v33 offset1:13
	v_pack_b32_f16 v12, v106, v107
	v_pack_b32_f16 v33, v109, v110
	v_mul_f16_e32 v95, 0x2b26, v53
	ds_write2_b32 v94, v12, v33 offset0:26 offset1:39
	v_pack_b32_f16 v12, v36, v16
	v_pack_b32_f16 v15, v19, v15
	v_fma_f16 v45, v45, s14, v99
	v_fma_f16 v95, v100, s16, -v95
	ds_write2_b32 v94, v12, v15 offset0:52 offset1:65
	v_pack_b32_f16 v12, v54, v55
	v_mul_f16_e32 v56, 0x3a52, v56
	v_add_f16_e32 v95, v95, v45
	v_fma_f16 v18, v43, s17, v18
	ds_write_b32 v94, v12 offset:312
	v_mul_u32_u24_e32 v12, 0x5b, v49
	v_fma_f16 v53, v53, s13, v56
	v_fma_f16 v56, v100, s18, -v56
	v_fma_f16 v100, v98, s19, v103
	v_sub_f16_e32 v103, v95, v18
	v_add_f16_e32 v18, v18, v95
	v_add_lshl_u32 v95, v12, v50, 2
	v_pack_b32_f16 v12, v96, v13
	v_pack_b32_f16 v13, v38, v97
	ds_write2_b32 v95, v12, v13 offset1:13
	v_pack_b32_f16 v12, v104, v108
	v_pack_b32_f16 v13, v111, v112
	ds_write2_b32 v95, v12, v13 offset0:26 offset1:39
	v_pack_b32_f16 v12, v17, v70
	v_pack_b32_f16 v13, v34, v44
	v_fma_f16 v98, v98, s20, -v113
	v_fma_f16 v35, v35, s20, -v114
	v_add_f16_e32 v53, v53, v45
	v_add_f16_e32 v68, v68, v47
	;; [unrolled: 1-line block ×4, first 2 shown]
	v_fma_f16 v56, v67, s17, v100
	v_fma_f16 v57, v43, s17, v101
	ds_write2_b32 v95, v12, v13 offset0:52 offset1:65
	v_pack_b32_f16 v12, v42, v46
	v_fma_f16 v67, v67, s17, v98
	v_fma_f16 v35, v43, s17, v35
	v_add_f16_e32 v43, v57, v53
	v_sub_f16_e32 v98, v68, v56
	ds_write_b32 v95, v12 offset:312
	v_mad_legacy_u16 v12, v51, s26, v52
	v_add_f16_e32 v100, v35, v45
	v_sub_f16_e32 v101, v47, v67
	v_lshlrev_b32_e32 v96, 2, v12
	v_pack_b32_f16 v12, v99, v14
	v_pack_b32_f16 v13, v43, v98
	v_mad_u64_u32 v[16:17], s[22:23], v83, 24, s[4:5]
	v_sub_f16_e32 v35, v45, v35
	v_add_f16_e32 v45, v67, v47
	ds_write2_b32 v96, v12, v13 offset1:13
	v_pack_b32_f16 v12, v100, v101
	v_pack_b32_f16 v13, v103, v105
	v_sub_f16_e32 v47, v53, v57
	v_add_f16_e32 v53, v56, v68
	ds_write2_b32 v96, v12, v13 offset0:26 offset1:39
	v_pack_b32_f16 v12, v18, v102
	v_pack_b32_f16 v13, v35, v45
	ds_write2_b32 v96, v12, v13 offset0:52 offset1:65
	v_pack_b32_f16 v12, v47, v53
	ds_write_b32 v96, v12 offset:312
	s_waitcnt lgkmcnt(0)
	s_barrier
	global_load_dwordx4 v[12:15], v[16:17], off offset:312
	global_load_dwordx2 v[33:34], v[16:17], off offset:328
	v_mul_u32_u24_sdwa v16, v41, s21 dst_sel:DWORD dst_unused:UNUSED_PAD src0_sel:WORD_0 src1_sel:DWORD
	v_sub_u16_sdwa v17, v41, v16 dst_sel:DWORD dst_unused:UNUSED_PAD src0_sel:DWORD src1_sel:WORD_1
	v_lshrrev_b16_e32 v17, 1, v17
	v_add_u16_sdwa v16, v17, v16 dst_sel:DWORD dst_unused:UNUSED_PAD src0_sel:DWORD src1_sel:WORD_1
	v_lshrrev_b16_e32 v16, 6, v16
	v_mul_lo_u16_e32 v16, 0x5b, v16
	v_sub_u16_e32 v40, v41, v16
	v_mul_lo_u16_e32 v16, 24, v40
	v_mov_b32_e32 v17, s5
	v_add_co_u32_e32 v35, vcc, s4, v16
	v_addc_co_u32_e32 v36, vcc, 0, v17, vcc
	global_load_dwordx4 v[16:19], v[35:36], off offset:312
	ds_read2_b32 v[37:38], v60 offset0:54 offset1:145
	ds_read2_b32 v[42:43], v71 offset1:91
	ds_read2_b32 v[44:45], v61 offset0:34 offset1:125
	ds_read2_b32 v[46:47], v64 offset0:88 offset1:179
	;; [unrolled: 1-line block ×7, first 2 shown]
	global_load_dwordx2 v[35:36], v[35:36], off offset:328
	s_waitcnt lgkmcnt(8)
	v_lshrrev_b32_e32 v58, 16, v38
	s_waitcnt lgkmcnt(6)
	v_lshrrev_b32_e32 v97, 16, v44
	;; [unrolled: 2-line block ×7, first 2 shown]
	v_lshrrev_b32_e32 v103, 16, v45
	ds_read2_b32 v[67:68], v69 offset0:48 offset1:139
	s_waitcnt lgkmcnt(1)
	v_lshrrev_b32_e32 v104, 16, v56
	v_lshrrev_b32_e32 v105, 16, v49
	;; [unrolled: 1-line block ×4, first 2 shown]
	s_waitcnt lgkmcnt(0)
	v_lshrrev_b32_e32 v106, 16, v67
	v_lshrrev_b32_e32 v110, 16, v46
	;; [unrolled: 1-line block ×3, first 2 shown]
	ds_read_b32 v109, v71 offset:7280
	v_lshrrev_b32_e32 v112, 16, v50
	v_lshrrev_b32_e32 v113, 16, v68
	s_waitcnt vmcnt(0) lgkmcnt(0)
	s_barrier
	v_lshrrev_b32_e32 v114, 16, v109
	v_lshlrev_b32_e32 v70, 3, v83
	v_lshlrev_b32_e32 v41, 3, v41
	v_mul_f16_sdwa v115, v58, v12 dst_sel:DWORD dst_unused:UNUSED_PAD src0_sel:DWORD src1_sel:WORD_1
	v_fma_f16 v115, v38, v12, -v115
	v_mul_f16_sdwa v38, v38, v12 dst_sel:DWORD dst_unused:UNUSED_PAD src0_sel:DWORD src1_sel:WORD_1
	v_fma_f16 v38, v58, v12, v38
	v_mul_f16_sdwa v58, v97, v13 dst_sel:DWORD dst_unused:UNUSED_PAD src0_sel:DWORD src1_sel:WORD_1
	v_fma_f16 v58, v44, v13, -v58
	v_mul_f16_sdwa v44, v44, v13 dst_sel:DWORD dst_unused:UNUSED_PAD src0_sel:DWORD src1_sel:WORD_1
	v_fma_f16 v44, v97, v13, v44
	;; [unrolled: 4-line block ×18, first 2 shown]
	v_add_f16_e32 v114, v115, v100
	v_add_f16_e32 v116, v38, v52
	v_sub_f16_e32 v100, v115, v100
	v_sub_f16_e32 v38, v38, v52
	v_add_f16_e32 v52, v58, v99
	v_add_f16_e32 v115, v44, v51
	v_sub_f16_e32 v58, v58, v99
	v_sub_f16_e32 v44, v44, v51
	;; [unrolled: 4-line block ×4, first 2 shown]
	v_sub_f16_e32 v114, v114, v51
	v_sub_f16_e32 v116, v116, v99
	;; [unrolled: 1-line block ×4, first 2 shown]
	v_add_f16_e32 v119, v97, v58
	v_add_f16_e32 v120, v47, v44
	v_sub_f16_e32 v121, v97, v58
	v_sub_f16_e32 v122, v47, v44
	;; [unrolled: 1-line block ×4, first 2 shown]
	v_add_f16_e32 v48, v51, v48
	v_add_f16_e32 v51, v99, v98
	v_sub_f16_e32 v97, v100, v97
	v_sub_f16_e32 v47, v38, v47
	v_add_f16_e32 v98, v119, v100
	v_add_f16_e32 v38, v120, v38
	;; [unrolled: 1-line block ×3, first 2 shown]
	v_add_f16_sdwa v42, v42, v51 dst_sel:DWORD dst_unused:UNUSED_PAD src0_sel:WORD_1 src1_sel:DWORD
	v_mul_f16_e32 v100, 0x3a52, v114
	v_mul_f16_e32 v114, 0x3a52, v116
	;; [unrolled: 1-line block ×8, first 2 shown]
	v_fma_f16 v48, v48, s14, v99
	v_fma_f16 v51, v51, s14, v42
	;; [unrolled: 1-line block ×4, first 2 shown]
	v_fma_f16 v116, v117, s16, -v116
	v_fma_f16 v119, v118, s16, -v119
	v_fma_f16 v100, v117, s18, -v100
	v_fma_f16 v114, v118, s18, -v114
	v_fma_f16 v117, v97, s19, v120
	v_fma_f16 v118, v47, s19, v121
	v_fma_f16 v44, v44, s12, -v121
	v_fma_f16 v97, v97, s20, -v122
	;; [unrolled: 1-line block ×4, first 2 shown]
	v_add_f16_e32 v52, v52, v48
	v_add_f16_e32 v115, v115, v51
	;; [unrolled: 1-line block ×6, first 2 shown]
	v_fma_f16 v100, v98, s17, v117
	v_fma_f16 v114, v38, s17, v118
	;; [unrolled: 1-line block ×6, first 2 shown]
	v_add_f16_e32 v47, v114, v52
	v_sub_f16_e32 v98, v115, v100
	v_add_f16_e32 v117, v38, v48
	v_sub_f16_e32 v118, v51, v97
	v_sub_f16_e32 v38, v48, v38
	v_add_f16_e32 v48, v97, v51
	v_sub_f16_e32 v51, v52, v114
	v_add_f16_e32 v52, v100, v115
	v_add_f16_e32 v97, v101, v106
	;; [unrolled: 1-line block ×3, first 2 shown]
	v_sub_f16_e32 v101, v101, v106
	v_sub_f16_e32 v53, v54, v53
	v_add_f16_e32 v54, v102, v105
	v_add_f16_e32 v106, v45, v67
	v_sub_f16_e32 v102, v102, v105
	v_sub_f16_e32 v45, v45, v67
	v_add_f16_e32 v67, v103, v104
	v_add_f16_e32 v105, v56, v49
	;; [unrolled: 4-line block ×3, first 2 shown]
	v_sub_f16_e32 v120, v116, v44
	v_add_f16_e32 v121, v58, v119
	v_add_f16_e32 v44, v44, v116
	v_sub_f16_e32 v58, v119, v58
	v_sub_f16_e32 v114, v54, v97
	;; [unrolled: 1-line block ×7, first 2 shown]
	v_add_f16_e32 v116, v103, v102
	v_add_f16_e32 v119, v49, v45
	v_sub_f16_e32 v122, v103, v102
	v_sub_f16_e32 v123, v49, v45
	;; [unrolled: 1-line block ×4, first 2 shown]
	v_add_f16_e32 v56, v67, v56
	v_add_f16_e32 v67, v105, v104
	v_sub_f16_e32 v103, v101, v103
	v_sub_f16_e32 v49, v53, v49
	v_add_f16_e32 v101, v116, v101
	v_add_f16_e32 v53, v119, v53
	v_add_f16_e32 v104, v43, v56
	v_add_f16_sdwa v43, v43, v67 dst_sel:DWORD dst_unused:UNUSED_PAD src0_sel:WORD_1 src1_sel:DWORD
	v_mul_f16_e32 v97, 0x3a52, v97
	v_mul_f16_e32 v100, 0x3a52, v100
	;; [unrolled: 1-line block ×8, first 2 shown]
	v_fma_f16 v56, v56, s14, v104
	v_fma_f16 v67, v67, s14, v43
	;; [unrolled: 1-line block ×4, first 2 shown]
	v_fma_f16 v105, v114, s16, -v105
	v_fma_f16 v116, v115, s16, -v116
	;; [unrolled: 1-line block ×4, first 2 shown]
	v_fma_f16 v114, v103, s19, v119
	v_fma_f16 v115, v49, s19, v122
	v_fma_f16 v102, v102, s12, -v119
	v_fma_f16 v45, v45, s12, -v122
	;; [unrolled: 1-line block ×4, first 2 shown]
	v_add_f16_e32 v54, v54, v56
	v_add_f16_e32 v106, v106, v67
	;; [unrolled: 1-line block ×6, first 2 shown]
	v_fma_f16 v97, v101, s17, v114
	v_fma_f16 v100, v53, s17, v115
	;; [unrolled: 1-line block ×6, first 2 shown]
	v_add_f16_e32 v53, v100, v54
	v_sub_f16_e32 v103, v106, v97
	v_add_f16_e32 v114, v49, v56
	v_sub_f16_e32 v115, v67, v101
	v_sub_f16_e32 v119, v105, v45
	v_add_f16_e32 v45, v45, v105
	v_sub_f16_e32 v49, v56, v49
	v_add_f16_e32 v56, v101, v67
	;; [unrolled: 2-line block ×3, first 2 shown]
	v_add_f16_e32 v97, v107, v113
	v_add_f16_e32 v100, v55, v109
	;; [unrolled: 1-line block ×4, first 2 shown]
	v_pack_b32_f16 v42, v99, v42
	v_pack_b32_f16 v47, v47, v98
	v_sub_f16_e32 v101, v107, v113
	v_sub_f16_e32 v55, v55, v109
	;; [unrolled: 1-line block ×4, first 2 shown]
	v_add_f16_e32 v68, v110, v111
	v_add_f16_e32 v108, v57, v50
	v_sub_f16_e32 v109, v111, v110
	v_sub_f16_e32 v50, v50, v57
	v_add_f16_e32 v57, v105, v97
	v_add_f16_e32 v110, v106, v100
	ds_write2_b32 v71, v42, v47 offset1:91
	v_pack_b32_f16 v42, v117, v118
	v_pack_b32_f16 v47, v120, v121
	v_add_f16_e32 v122, v102, v116
	v_sub_f16_e32 v102, v116, v102
	v_sub_f16_e32 v111, v105, v97
	;; [unrolled: 1-line block ×7, first 2 shown]
	v_add_f16_e32 v113, v109, v107
	v_add_f16_e32 v116, v50, v46
	v_sub_f16_e32 v123, v109, v107
	v_sub_f16_e32 v124, v50, v46
	;; [unrolled: 1-line block ×4, first 2 shown]
	v_add_f16_e32 v57, v68, v57
	v_add_f16_e32 v68, v108, v110
	ds_write2_b32 v60, v42, v47 offset0:54 offset1:145
	v_pack_b32_f16 v42, v44, v58
	v_pack_b32_f16 v38, v38, v48
	v_sub_f16_e32 v109, v101, v109
	v_sub_f16_e32 v50, v55, v50
	v_add_f16_e32 v101, v113, v101
	v_add_f16_e32 v55, v116, v55
	;; [unrolled: 1-line block ×3, first 2 shown]
	v_add_f16_sdwa v37, v37, v68 dst_sel:DWORD dst_unused:UNUSED_PAD src0_sel:WORD_1 src1_sel:DWORD
	v_mul_f16_e32 v97, 0x3a52, v97
	v_mul_f16_e32 v100, 0x3a52, v100
	;; [unrolled: 1-line block ×8, first 2 shown]
	ds_write2_b32 v62, v42, v38 offset0:108 offset1:199
	v_pack_b32_f16 v38, v51, v52
	v_pack_b32_f16 v42, v104, v43
	v_fma_f16 v57, v57, s14, v108
	v_fma_f16 v68, v68, s14, v37
	;; [unrolled: 1-line block ×4, first 2 shown]
	v_fma_f16 v110, v111, s16, -v110
	v_fma_f16 v113, v112, s16, -v113
	;; [unrolled: 1-line block ×4, first 2 shown]
	v_fma_f16 v111, v109, s19, v116
	v_fma_f16 v112, v50, s19, v123
	v_fma_f16 v107, v107, s12, -v116
	v_fma_f16 v109, v109, s20, -v124
	;; [unrolled: 1-line block ×3, first 2 shown]
	ds_write2_b32 v61, v38, v42 offset0:34 offset1:125
	v_pack_b32_f16 v38, v53, v103
	v_pack_b32_f16 v42, v114, v115
	v_fma_f16 v46, v46, s12, -v123
	v_add_f16_e32 v105, v105, v57
	v_add_f16_e32 v106, v106, v68
	;; [unrolled: 1-line block ×6, first 2 shown]
	v_fma_f16 v97, v101, s17, v111
	v_fma_f16 v100, v55, s17, v112
	;; [unrolled: 1-line block ×5, first 2 shown]
	ds_write2_b32 v64, v38, v42 offset0:88 offset1:179
	v_pack_b32_f16 v38, v119, v122
	v_pack_b32_f16 v42, v45, v102
	v_fma_f16 v46, v55, s17, v46
	v_add_f16_e32 v55, v100, v105
	v_sub_f16_e32 v109, v106, v97
	v_add_f16_e32 v111, v50, v57
	v_sub_f16_e32 v112, v68, v101
	v_sub_f16_e32 v50, v57, v50
	v_add_f16_e32 v57, v101, v68
	v_sub_f16_e32 v68, v105, v100
	v_add_f16_e32 v100, v97, v106
	ds_write2_b32 v66, v38, v42 offset0:142 offset1:233
	v_pack_b32_f16 v38, v49, v56
	v_pack_b32_f16 v42, v54, v67
	v_lshlrev_b32_e32 v97, 2, v40
	v_sub_f16_e32 v116, v110, v46
	v_add_f16_e32 v123, v107, v113
	ds_write2_b32 v59, v38, v42 offset0:68 offset1:159
	v_pack_b32_f16 v37, v108, v37
	v_pack_b32_f16 v38, v55, v109
	v_add_u32_e32 v40, 0x1200, v97
	v_add_f16_e32 v46, v46, v110
	v_sub_f16_e32 v107, v113, v107
	ds_write2_b32 v40, v37, v38 offset0:122 offset1:213
	v_pack_b32_f16 v37, v111, v112
	v_pack_b32_f16 v38, v116, v123
	v_add_u32_e32 v40, 0x1600, v97
	ds_write2_b32 v40, v37, v38 offset0:48 offset1:139
	v_pack_b32_f16 v37, v46, v107
	v_pack_b32_f16 v38, v50, v57
	v_add_u32_e32 v40, 0x1800, v97
	ds_write2_b32 v40, v37, v38 offset0:102 offset1:193
	v_pack_b32_f16 v37, v68, v100
	ds_write_b32 v97, v37 offset:7280
	s_waitcnt lgkmcnt(0)
	s_barrier
	global_load_dwordx2 v[37:38], v70, s[4:5] offset:2496
	v_add_u32_e32 v43, 0x888, v70
	global_load_dwordx2 v[39:40], v39, s[4:5] offset:2496
	v_add_u32_e32 v45, 0xb60, v70
	global_load_dwordx2 v[41:42], v41, s[4:5] offset:2496
	v_add_u32_e32 v47, 0xe38, v70
	global_load_dwordx2 v[43:44], v43, s[4:5] offset:2496
	v_mov_b32_e32 v49, s15
	global_load_dwordx2 v[45:46], v45, s[4:5] offset:2496
	v_addc_co_u32_e64 v108, vcc, 0, v49, s[2:3]
	global_load_dwordx2 v[47:48], v47, s[4:5] offset:2496
	v_add_u32_e32 v49, 0x1110, v70
	ds_read2_b32 v[51:52], v71 offset1:91
	ds_read2_b32 v[57:58], v61 offset0:34 offset1:125
	global_load_dwordx2 v[49:50], v49, s[4:5] offset:2496
	ds_read2_b32 v[53:54], v65 offset0:122 offset1:213
	ds_read2_b32 v[55:56], v64 offset0:88 offset1:179
	;; [unrolled: 1-line block ×3, first 2 shown]
	s_waitcnt lgkmcnt(3)
	v_lshrrev_b32_e32 v109, 16, v58
	ds_read2_b32 v[100:101], v66 offset0:142 offset1:233
	s_waitcnt lgkmcnt(3)
	v_lshrrev_b32_e32 v110, 16, v53
	s_waitcnt lgkmcnt(2)
	v_lshrrev_b32_e32 v112, 16, v55
	v_lshrrev_b32_e32 v113, 16, v54
	;; [unrolled: 1-line block ×3, first 2 shown]
	s_waitcnt lgkmcnt(1)
	v_lshrrev_b32_e32 v116, 16, v98
	s_waitcnt lgkmcnt(0)
	v_lshrrev_b32_e32 v118, 16, v100
	ds_read2_b32 v[104:105], v63 offset0:102 offset1:193
	v_lshrrev_b32_e32 v119, 16, v99
	ds_read2_b32 v[106:107], v59 offset0:68 offset1:159
	v_lshrrev_b32_e32 v121, 16, v101
	ds_read_b32 v124, v71 offset:7280
	s_waitcnt lgkmcnt(2)
	v_lshrrev_b32_e32 v122, 16, v104
	v_lshrrev_b32_e32 v126, 16, v105
	s_waitcnt lgkmcnt(1)
	v_lshrrev_b32_e32 v125, 16, v106
	v_lshrrev_b32_e32 v128, 16, v107
	;; [unrolled: 3-line block ×3, first 2 shown]
	s_movk_i32 s2, 0x3aee
	s_mov_b32 s3, 0xbaee
	ds_read2_b32 v[67:68], v60 offset0:54 offset1:145
	v_lshrrev_b32_e32 v111, 16, v52
	ds_read2_b32 v[102:103], v62 offset0:108 offset1:199
	v_lshrrev_b32_e32 v127, 16, v57
	s_movk_i32 s4, 0x1000
	s_waitcnt lgkmcnt(1)
	v_lshrrev_b32_e32 v114, 16, v67
	v_lshrrev_b32_e32 v117, 16, v68
	s_waitcnt lgkmcnt(0)
	v_lshrrev_b32_e32 v120, 16, v102
	v_lshrrev_b32_e32 v123, 16, v103
	s_waitcnt vmcnt(6)
	v_mul_f16_sdwa v130, v109, v37 dst_sel:DWORD dst_unused:UNUSED_PAD src0_sel:DWORD src1_sel:WORD_1
	v_fma_f16 v130, v58, v37, -v130
	v_mul_f16_sdwa v58, v58, v37 dst_sel:DWORD dst_unused:UNUSED_PAD src0_sel:DWORD src1_sel:WORD_1
	v_fma_f16 v58, v109, v37, v58
	v_mul_f16_sdwa v109, v110, v38 dst_sel:DWORD dst_unused:UNUSED_PAD src0_sel:DWORD src1_sel:WORD_1
	v_fma_f16 v109, v53, v38, -v109
	v_mul_f16_sdwa v53, v53, v38 dst_sel:DWORD dst_unused:UNUSED_PAD src0_sel:DWORD src1_sel:WORD_1
	v_fma_f16 v53, v110, v38, v53
	s_waitcnt vmcnt(5)
	v_mul_f16_sdwa v110, v112, v39 dst_sel:DWORD dst_unused:UNUSED_PAD src0_sel:DWORD src1_sel:WORD_1
	v_fma_f16 v110, v55, v39, -v110
	v_mul_f16_sdwa v55, v55, v39 dst_sel:DWORD dst_unused:UNUSED_PAD src0_sel:DWORD src1_sel:WORD_1
	v_fma_f16 v55, v112, v39, v55
	v_mul_f16_sdwa v112, v113, v40 dst_sel:DWORD dst_unused:UNUSED_PAD src0_sel:DWORD src1_sel:WORD_1
	v_fma_f16 v112, v54, v40, -v112
	v_mul_f16_sdwa v54, v54, v40 dst_sel:DWORD dst_unused:UNUSED_PAD src0_sel:DWORD src1_sel:WORD_1
	v_fma_f16 v54, v113, v40, v54
	;; [unrolled: 9-line block ×6, first 2 shown]
	s_waitcnt vmcnt(0)
	v_mul_f16_sdwa v126, v128, v49 dst_sel:DWORD dst_unused:UNUSED_PAD src0_sel:DWORD src1_sel:WORD_1
	v_fma_f16 v126, v107, v49, -v126
	v_mul_f16_sdwa v107, v107, v49 dst_sel:DWORD dst_unused:UNUSED_PAD src0_sel:DWORD src1_sel:WORD_1
	v_fma_f16 v107, v128, v49, v107
	v_mul_f16_sdwa v128, v129, v50 dst_sel:DWORD dst_unused:UNUSED_PAD src0_sel:DWORD src1_sel:WORD_1
	v_fma_f16 v128, v124, v50, -v128
	v_mul_f16_sdwa v124, v124, v50 dst_sel:DWORD dst_unused:UNUSED_PAD src0_sel:DWORD src1_sel:WORD_1
	v_add_f16_e32 v131, v130, v109
	v_fma_f16 v124, v129, v50, v124
	v_add_f16_e32 v129, v51, v130
	v_fma_f16 v51, v131, -0.5, v51
	v_sub_f16_e32 v131, v58, v53
	v_fma_f16 v132, v131, s2, v51
	v_fma_f16 v131, v131, s3, v51
	v_add_f16_e32 v51, v70, v58
	v_add_f16_e32 v133, v51, v53
	;; [unrolled: 1-line block ×3, first 2 shown]
	v_fma_f16 v51, v51, -0.5, v70
	v_sub_f16_e32 v53, v130, v109
	v_add_f16_e32 v129, v129, v109
	v_fma_f16 v70, v53, s3, v51
	v_fma_f16 v109, v53, s2, v51
	v_add_f16_e32 v51, v52, v110
	v_add_f16_e32 v130, v51, v112
	v_add_f16_e32 v51, v110, v112
	v_fma_f16 v51, v51, -0.5, v52
	v_sub_f16_e32 v52, v55, v54
	v_fma_f16 v134, v52, s2, v51
	v_fma_f16 v135, v52, s3, v51
	v_add_f16_e32 v51, v111, v55
	v_add_f16_e32 v136, v51, v54
	v_add_f16_e32 v51, v55, v54
	v_fma_f16 v51, v51, -0.5, v111
	v_sub_f16_e32 v52, v110, v112
	;; [unrolled: 7-line block ×8, first 2 shown]
	v_fma_f16 v98, v54, s3, v53
	v_fma_f16 v99, v54, s2, v53
	v_add_f16_e32 v54, v122, v125
	v_fma_f16 v55, v54, -0.5, v103
	v_sub_f16_e32 v56, v106, v105
	v_fma_f16 v54, v56, s2, v55
	v_fma_f16 v55, v56, s3, v55
	v_add_f16_e32 v56, v123, v106
	v_add_f16_e32 v104, v107, v124
	v_pack_b32_f16 v70, v132, v70
	v_add_f16_e32 v100, v56, v105
	v_add_f16_e32 v56, v106, v105
	v_fma_f16 v105, v104, -0.5, v127
	v_sub_f16_e32 v106, v126, v128
	ds_write_b32 v71, v70 offset:2548
	v_pack_b32_f16 v70, v131, v109
	v_fma_f16 v56, v56, -0.5, v123
	v_sub_f16_e32 v58, v122, v125
	v_fma_f16 v104, v106, s3, v105
	v_fma_f16 v105, v106, s2, v105
	v_pack_b32_f16 v106, v129, v133
	ds_write_b32 v71, v70 offset:5096
	v_pack_b32_f16 v70, v130, v136
	v_fma_f16 v101, v58, s3, v56
	v_fma_f16 v102, v58, s2, v56
	v_add_f16_e32 v58, v126, v128
	ds_write2_b32 v71, v106, v70 offset1:91
	v_pack_b32_f16 v70, v134, v110
	v_pack_b32_f16 v67, v67, v113
	v_add_f16_e32 v53, v103, v122
	v_fma_f16 v58, v58, -0.5, v57
	v_sub_f16_e32 v103, v107, v124
	v_pack_b32_f16 v106, v135, v111
	ds_write2_b32 v64, v70, v67 offset0:88 offset1:179
	v_pack_b32_f16 v67, v137, v114
	v_add_u32_e32 v70, 0x1400, v71
	v_add_f16_e32 v56, v57, v126
	v_fma_f16 v57, v103, s2, v58
	v_fma_f16 v58, v103, s3, v58
	v_add_f16_e32 v103, v127, v107
	v_pack_b32_f16 v107, v112, v138
	ds_write2_b32 v70, v106, v67 offset0:85 offset1:176
	v_pack_b32_f16 v67, v115, v140
	ds_write2_b32 v60, v107, v67 offset0:54 offset1:145
	v_pack_b32_f16 v60, v68, v116
	v_pack_b32_f16 v70, v51, v98
	v_add_f16_e32 v53, v53, v125
	v_add_f16_e32 v56, v56, v128
	;; [unrolled: 1-line block ×3, first 2 shown]
	v_pack_b32_f16 v67, v139, v117
	ds_write2_b32 v66, v60, v70 offset0:142 offset1:233
	v_pack_b32_f16 v60, v52, v99
	v_pack_b32_f16 v68, v118, v141
	ds_write2_b32 v63, v67, v60 offset0:11 offset1:102
	v_pack_b32_f16 v60, v53, v100
	;; [unrolled: 3-line block ×3, first 2 shown]
	ds_write_b32 v71, v67 offset:2184
	v_pack_b32_f16 v67, v57, v104
	v_pack_b32_f16 v66, v55, v102
	ds_write2_b32 v59, v60, v67 offset0:68 offset1:159
	v_pack_b32_f16 v59, v58, v105
	v_add_u32_e32 v60, 0x1a00, v71
	ds_write2_b32 v60, v66, v59 offset0:65 offset1:156
	v_add_co_u32_e32 v59, vcc, s4, v20
	v_addc_co_u32_e32 v60, vcc, 0, v108, vcc
	s_waitcnt lgkmcnt(0)
	s_barrier
	global_load_dword v68, v[59:60], off offset:3548
	s_movk_i32 s2, 0x1ddc
	v_add_co_u32_e32 v59, vcc, s2, v20
	v_addc_co_u32_e32 v60, vcc, 0, v108, vcc
	global_load_dword v70, v[59:60], off offset:588
	global_load_dword v109, v[59:60], off offset:1176
	;; [unrolled: 1-line block ×5, first 2 shown]
	s_movk_i32 s2, 0x2000
	v_add_co_u32_e32 v66, vcc, s2, v20
	v_addc_co_u32_e32 v67, vcc, 0, v108, vcc
	global_load_dword v113, v[66:67], off offset:3568
	global_load_dword v114, v[59:60], off offset:3528
	s_movk_i32 s2, 0x3000
	v_add_co_u32_e32 v66, vcc, s2, v20
	v_addc_co_u32_e32 v67, vcc, 0, v108, vcc
	global_load_dword v108, v[66:67], off offset:60
	global_load_dword v115, v[66:67], off offset:648
	ds_read2_b32 v[106:107], v71 offset1:147
	global_load_dword v116, v[66:67], off offset:1236
	global_load_dword v119, v[66:67], off offset:1824
	s_waitcnt lgkmcnt(0)
	v_lshrrev_b32_e32 v117, 16, v106
	s_waitcnt vmcnt(11)
	v_mul_f16_sdwa v118, v117, v68 dst_sel:DWORD dst_unused:UNUSED_PAD src0_sel:DWORD src1_sel:WORD_1
	v_fma_f16 v118, v106, v68, -v118
	v_mul_f16_sdwa v106, v106, v68 dst_sel:DWORD dst_unused:UNUSED_PAD src0_sel:DWORD src1_sel:WORD_1
	v_fma_f16 v68, v117, v68, v106
	v_pack_b32_f16 v68, v118, v68
	global_load_dword v118, v[66:67], off offset:2412
	v_lshrrev_b32_e32 v106, 16, v107
	s_waitcnt vmcnt(11)
	v_mul_f16_sdwa v117, v106, v70 dst_sel:DWORD dst_unused:UNUSED_PAD src0_sel:DWORD src1_sel:WORD_1
	v_fma_f16 v117, v107, v70, -v117
	v_mul_f16_sdwa v107, v107, v70 dst_sel:DWORD dst_unused:UNUSED_PAD src0_sel:DWORD src1_sel:WORD_1
	v_fma_f16 v70, v106, v70, v107
	v_pack_b32_f16 v66, v117, v70
	ds_write2_b32 v71, v68, v66 offset1:147
	ds_read2_b32 v[66:67], v62 offset0:38 offset1:185
	ds_read2_b32 v[106:107], v61 offset0:76 offset1:223
	s_waitcnt lgkmcnt(1)
	v_lshrrev_b32_e32 v68, 16, v66
	s_waitcnt vmcnt(10)
	v_mul_f16_sdwa v70, v68, v109 dst_sel:DWORD dst_unused:UNUSED_PAD src0_sel:DWORD src1_sel:WORD_1
	v_fma_f16 v70, v66, v109, -v70
	v_mul_f16_sdwa v66, v66, v109 dst_sel:DWORD dst_unused:UNUSED_PAD src0_sel:DWORD src1_sel:WORD_1
	v_fma_f16 v66, v68, v109, v66
	v_lshrrev_b32_e32 v68, 16, v67
	v_pack_b32_f16 v66, v70, v66
	s_waitcnt vmcnt(9)
	v_mul_f16_sdwa v70, v68, v110 dst_sel:DWORD dst_unused:UNUSED_PAD src0_sel:DWORD src1_sel:WORD_1
	v_fma_f16 v70, v67, v110, -v70
	v_mul_f16_sdwa v67, v67, v110 dst_sel:DWORD dst_unused:UNUSED_PAD src0_sel:DWORD src1_sel:WORD_1
	v_fma_f16 v67, v68, v110, v67
	v_pack_b32_f16 v67, v70, v67
	ds_write2_b32 v62, v66, v67 offset0:38 offset1:185
	s_waitcnt lgkmcnt(1)
	v_lshrrev_b32_e32 v66, 16, v106
	s_waitcnt vmcnt(8)
	v_mul_f16_sdwa v67, v66, v111 dst_sel:DWORD dst_unused:UNUSED_PAD src0_sel:DWORD src1_sel:WORD_1
	v_mul_f16_sdwa v68, v106, v111 dst_sel:DWORD dst_unused:UNUSED_PAD src0_sel:DWORD src1_sel:WORD_1
	v_fma_f16 v67, v106, v111, -v67
	v_fma_f16 v66, v66, v111, v68
	v_lshrrev_b32_e32 v106, 16, v107
	v_pack_b32_f16 v70, v67, v66
	s_waitcnt vmcnt(7)
	v_mul_f16_sdwa v66, v106, v112 dst_sel:DWORD dst_unused:UNUSED_PAD src0_sel:DWORD src1_sel:WORD_1
	v_fma_f16 v109, v107, v112, -v66
	v_add_u32_e32 v66, 0xd00, v71
	ds_read2_b32 v[67:68], v66 offset0:50 offset1:197
	v_mul_f16_sdwa v107, v107, v112 dst_sel:DWORD dst_unused:UNUSED_PAD src0_sel:DWORD src1_sel:WORD_1
	v_fma_f16 v106, v106, v112, v107
	v_pack_b32_f16 v106, v109, v106
	ds_write2_b32 v61, v70, v106 offset0:76 offset1:223
	s_waitcnt lgkmcnt(1)
	v_lshrrev_b32_e32 v70, 16, v67
	s_waitcnt vmcnt(5)
	v_mul_f16_sdwa v106, v70, v114 dst_sel:DWORD dst_unused:UNUSED_PAD src0_sel:DWORD src1_sel:WORD_1
	v_fma_f16 v106, v67, v114, -v106
	v_mul_f16_sdwa v67, v67, v114 dst_sel:DWORD dst_unused:UNUSED_PAD src0_sel:DWORD src1_sel:WORD_1
	v_fma_f16 v67, v70, v114, v67
	v_lshrrev_b32_e32 v70, 16, v68
	v_pack_b32_f16 v67, v106, v67
	v_mul_f16_sdwa v106, v70, v113 dst_sel:DWORD dst_unused:UNUSED_PAD src0_sel:DWORD src1_sel:WORD_1
	v_fma_f16 v109, v68, v113, -v106
	ds_read2_b32 v[106:107], v65 offset0:24 offset1:171
	v_mul_f16_sdwa v68, v68, v113 dst_sel:DWORD dst_unused:UNUSED_PAD src0_sel:DWORD src1_sel:WORD_1
	v_fma_f16 v68, v70, v113, v68
	v_pack_b32_f16 v68, v109, v68
	ds_write2_b32 v66, v67, v68 offset0:50 offset1:197
	s_waitcnt lgkmcnt(1)
	v_lshrrev_b32_e32 v67, 16, v106
	s_waitcnt vmcnt(4)
	v_mul_f16_sdwa v68, v67, v108 dst_sel:DWORD dst_unused:UNUSED_PAD src0_sel:DWORD src1_sel:WORD_1
	v_mul_f16_sdwa v70, v106, v108 dst_sel:DWORD dst_unused:UNUSED_PAD src0_sel:DWORD src1_sel:WORD_1
	v_fma_f16 v68, v106, v108, -v68
	v_fma_f16 v67, v67, v108, v70
	v_lshrrev_b32_e32 v106, 16, v107
	v_pack_b32_f16 v70, v68, v67
	s_waitcnt vmcnt(3)
	v_mul_f16_sdwa v67, v106, v115 dst_sel:DWORD dst_unused:UNUSED_PAD src0_sel:DWORD src1_sel:WORD_1
	v_fma_f16 v108, v107, v115, -v67
	ds_read2_b32 v[67:68], v69 offset0:62 offset1:209
	v_mul_f16_sdwa v107, v107, v115 dst_sel:DWORD dst_unused:UNUSED_PAD src0_sel:DWORD src1_sel:WORD_1
	v_fma_f16 v106, v106, v115, v107
	v_pack_b32_f16 v106, v108, v106
	ds_write2_b32 v65, v70, v106 offset0:24 offset1:171
	s_waitcnt lgkmcnt(1)
	v_lshrrev_b32_e32 v70, 16, v67
	s_waitcnt vmcnt(2)
	v_mul_f16_sdwa v106, v70, v116 dst_sel:DWORD dst_unused:UNUSED_PAD src0_sel:DWORD src1_sel:WORD_1
	v_fma_f16 v106, v67, v116, -v106
	v_mul_f16_sdwa v67, v67, v116 dst_sel:DWORD dst_unused:UNUSED_PAD src0_sel:DWORD src1_sel:WORD_1
	v_fma_f16 v67, v70, v116, v67
	v_lshrrev_b32_e32 v70, 16, v68
	ds_read_b32 v107, v71 offset:7056
	v_pack_b32_f16 v67, v106, v67
	s_waitcnt vmcnt(1)
	v_mul_f16_sdwa v106, v70, v119 dst_sel:DWORD dst_unused:UNUSED_PAD src0_sel:DWORD src1_sel:WORD_1
	v_fma_f16 v106, v68, v119, -v106
	v_mul_f16_sdwa v68, v68, v119 dst_sel:DWORD dst_unused:UNUSED_PAD src0_sel:DWORD src1_sel:WORD_1
	v_fma_f16 v68, v70, v119, v68
	v_pack_b32_f16 v68, v106, v68
	ds_write2_b32 v69, v67, v68 offset0:62 offset1:209
	s_waitcnt lgkmcnt(1)
	v_lshrrev_b32_e32 v67, 16, v107
	s_waitcnt vmcnt(0)
	v_mul_f16_sdwa v68, v67, v118 dst_sel:DWORD dst_unused:UNUSED_PAD src0_sel:DWORD src1_sel:WORD_1
	v_mul_f16_sdwa v70, v107, v118 dst_sel:DWORD dst_unused:UNUSED_PAD src0_sel:DWORD src1_sel:WORD_1
	v_fma_f16 v68, v107, v118, -v68
	v_fma_f16 v67, v67, v118, v70
	v_pack_b32_f16 v67, v68, v67
	ds_write_b32 v71, v67 offset:7056
	s_and_saveexec_b64 s[2:3], s[0:1]
	s_cbranch_execz .LBB0_9
; %bb.8:
	global_load_dword v70, v[59:60], off offset:364
	global_load_dword v114, v[59:60], off offset:952
	;; [unrolled: 1-line block ×7, first 2 shown]
	v_add_co_u32_e32 v59, vcc, s4, v59
	v_addc_co_u32_e32 v60, vcc, 0, v60, vcc
	global_load_dword v120, v[59:60], off offset:384
	global_load_dword v121, v[59:60], off offset:972
	;; [unrolled: 1-line block ×5, first 2 shown]
	v_add_u32_e32 v124, 0x600, v71
	ds_read2_b32 v[67:68], v71 offset0:91 offset1:238
	ds_read2_b32 v[106:107], v64 offset0:39 offset1:186
	v_add_u32_e32 v126, 0xe00, v71
	v_add_u32_e32 v127, 0x1300, v71
	ds_read2_b32 v[108:109], v124 offset0:1 offset1:148
	ds_read2_b32 v[110:111], v126 offset0:77 offset1:224
	;; [unrolled: 1-line block ×3, first 2 shown]
	global_load_dword v128, v[59:60], off offset:3324
	s_waitcnt lgkmcnt(4)
	v_lshrrev_b32_e32 v59, 16, v67
	v_lshrrev_b32_e32 v60, 16, v68
	s_waitcnt lgkmcnt(3)
	v_lshrrev_b32_e32 v129, 16, v106
	v_lshrrev_b32_e32 v130, 16, v107
	s_waitcnt lgkmcnt(2)
	v_lshrrev_b32_e32 v131, 16, v108
	v_lshrrev_b32_e32 v132, 16, v109
	s_waitcnt lgkmcnt(1)
	v_lshrrev_b32_e32 v133, 16, v110
	v_lshrrev_b32_e32 v134, 16, v111
	s_waitcnt lgkmcnt(0)
	v_lshrrev_b32_e32 v135, 16, v112
	v_lshrrev_b32_e32 v136, 16, v113
	s_waitcnt vmcnt(12)
	v_mul_f16_sdwa v137, v59, v70 dst_sel:DWORD dst_unused:UNUSED_PAD src0_sel:DWORD src1_sel:WORD_1
	v_mul_f16_sdwa v138, v67, v70 dst_sel:DWORD dst_unused:UNUSED_PAD src0_sel:DWORD src1_sel:WORD_1
	s_waitcnt vmcnt(11)
	v_mul_f16_sdwa v139, v60, v114 dst_sel:DWORD dst_unused:UNUSED_PAD src0_sel:DWORD src1_sel:WORD_1
	v_mul_f16_sdwa v140, v68, v114 dst_sel:DWORD dst_unused:UNUSED_PAD src0_sel:DWORD src1_sel:WORD_1
	;; [unrolled: 3-line block ×7, first 2 shown]
	v_fma_f16 v67, v67, v70, -v137
	v_fma_f16 v59, v59, v70, v138
	v_fma_f16 v68, v68, v114, -v139
	v_fma_f16 v60, v60, v114, v140
	;; [unrolled: 2-line block ×7, first 2 shown]
	s_waitcnt vmcnt(5)
	v_mul_f16_sdwa v118, v134, v120 dst_sel:DWORD dst_unused:UNUSED_PAD src0_sel:DWORD src1_sel:WORD_1
	v_mul_f16_sdwa v119, v111, v120 dst_sel:DWORD dst_unused:UNUSED_PAD src0_sel:DWORD src1_sel:WORD_1
	v_pack_b32_f16 v59, v67, v59
	v_pack_b32_f16 v60, v68, v60
	;; [unrolled: 1-line block ×4, first 2 shown]
	v_fma_f16 v108, v111, v120, -v118
	v_fma_f16 v109, v134, v120, v119
	v_pack_b32_f16 v70, v106, v115
	v_pack_b32_f16 v106, v107, v116
	;; [unrolled: 1-line block ×3, first 2 shown]
	ds_write2_b32 v71, v59, v60 offset0:91 offset1:238
	ds_write2_b32 v124, v67, v68 offset0:1 offset1:148
	;; [unrolled: 1-line block ×3, first 2 shown]
	v_pack_b32_f16 v59, v108, v109
	ds_write2_b32 v126, v107, v59 offset0:77 offset1:224
	ds_read2_b32 v[59:60], v63 offset0:25 offset1:172
	s_waitcnt vmcnt(4)
	v_mul_f16_sdwa v129, v135, v121 dst_sel:DWORD dst_unused:UNUSED_PAD src0_sel:DWORD src1_sel:WORD_1
	v_mul_f16_sdwa v130, v112, v121 dst_sel:DWORD dst_unused:UNUSED_PAD src0_sel:DWORD src1_sel:WORD_1
	s_waitcnt vmcnt(3)
	v_mul_f16_sdwa v131, v136, v122 dst_sel:DWORD dst_unused:UNUSED_PAD src0_sel:DWORD src1_sel:WORD_1
	v_mul_f16_sdwa v68, v113, v122 dst_sel:DWORD dst_unused:UNUSED_PAD src0_sel:DWORD src1_sel:WORD_1
	v_fma_f16 v110, v112, v121, -v129
	v_fma_f16 v111, v135, v121, v130
	v_fma_f16 v67, v113, v122, -v131
	v_fma_f16 v68, v136, v122, v68
	v_pack_b32_f16 v64, v110, v111
	v_pack_b32_f16 v67, v67, v68
	ds_write2_b32 v127, v64, v67 offset0:51 offset1:198
	s_waitcnt lgkmcnt(1)
	v_lshrrev_b32_e32 v64, 16, v59
	s_waitcnt vmcnt(2)
	v_mul_f16_sdwa v67, v64, v123 dst_sel:DWORD dst_unused:UNUSED_PAD src0_sel:DWORD src1_sel:WORD_1
	v_fma_f16 v67, v59, v123, -v67
	v_mul_f16_sdwa v59, v59, v123 dst_sel:DWORD dst_unused:UNUSED_PAD src0_sel:DWORD src1_sel:WORD_1
	v_fma_f16 v59, v64, v123, v59
	v_lshrrev_b32_e32 v64, 16, v60
	ds_read_b32 v68, v71 offset:7420
	v_pack_b32_f16 v59, v67, v59
	s_waitcnt vmcnt(1)
	v_mul_f16_sdwa v67, v64, v125 dst_sel:DWORD dst_unused:UNUSED_PAD src0_sel:DWORD src1_sel:WORD_1
	v_fma_f16 v67, v60, v125, -v67
	v_mul_f16_sdwa v60, v60, v125 dst_sel:DWORD dst_unused:UNUSED_PAD src0_sel:DWORD src1_sel:WORD_1
	v_fma_f16 v60, v64, v125, v60
	v_pack_b32_f16 v60, v67, v60
	ds_write2_b32 v63, v59, v60 offset0:25 offset1:172
	s_waitcnt lgkmcnt(1)
	v_lshrrev_b32_e32 v59, 16, v68
	s_waitcnt vmcnt(0)
	v_mul_f16_sdwa v60, v59, v128 dst_sel:DWORD dst_unused:UNUSED_PAD src0_sel:DWORD src1_sel:WORD_1
	v_mul_f16_sdwa v63, v68, v128 dst_sel:DWORD dst_unused:UNUSED_PAD src0_sel:DWORD src1_sel:WORD_1
	v_fma_f16 v60, v68, v128, -v60
	v_fma_f16 v59, v59, v128, v63
	v_pack_b32_f16 v59, v60, v59
	ds_write_b32 v71, v59 offset:7420
.LBB0_9:
	s_or_b64 exec, exec, s[2:3]
	s_waitcnt lgkmcnt(0)
	s_barrier
	ds_read2_b32 v[59:60], v71 offset1:147
	ds_read2_b32 v[67:68], v62 offset0:38 offset1:185
	ds_read2_b32 v[63:64], v61 offset0:76 offset1:223
	;; [unrolled: 1-line block ×5, first 2 shown]
	ds_read_b32 v106, v71 offset:7056
	s_and_saveexec_b64 s[2:3], s[0:1]
	s_cbranch_execz .LBB0_11
; %bb.10:
	v_add_u32_e32 v23, 0x600, v71
	ds_read2_b32 v[53:54], v23 offset0:1 offset1:148
	v_add_u32_e32 v23, 0xe00, v71
	v_add_u32_e32 v24, 0xa00, v71
	ds_read2_b32 v[57:58], v23 offset0:77 offset1:224
	v_add_u32_e32 v23, 0x1300, v71
	v_add_u32_e32 v25, 0x1800, v71
	ds_read2_b32 v[51:52], v71 offset0:91 offset1:238
	ds_read2_b32 v[55:56], v24 offset0:39 offset1:186
	ds_read2_b32 v[23:24], v23 offset0:51 offset1:198
	ds_read2_b32 v[25:26], v25 offset0:25 offset1:172
	ds_read_b32 v88, v71 offset:7420
	s_waitcnt lgkmcnt(4)
	v_lshrrev_b32_e32 v98, 16, v51
	v_lshrrev_b32_e32 v99, 16, v52
	v_lshrrev_b32_e32 v100, 16, v53
	v_lshrrev_b32_e32 v101, 16, v54
	s_waitcnt lgkmcnt(3)
	v_lshrrev_b32_e32 v102, 16, v55
	v_lshrrev_b32_e32 v103, 16, v56
	v_lshrrev_b32_e32 v104, 16, v57
	v_lshrrev_b32_e32 v105, 16, v58
	s_waitcnt lgkmcnt(2)
	v_lshrrev_b32_e32 v92, 16, v23
	v_lshrrev_b32_e32 v91, 16, v24
	s_waitcnt lgkmcnt(1)
	v_lshrrev_b32_e32 v90, 16, v25
	v_lshrrev_b32_e32 v89, 16, v26
	s_waitcnt lgkmcnt(0)
	v_lshrrev_b32_e32 v93, 16, v88
.LBB0_11:
	s_or_b64 exec, exec, s[2:3]
	s_waitcnt lgkmcnt(6)
	v_pk_add_f16 v107, v59, v60
	s_waitcnt lgkmcnt(5)
	v_pk_add_f16 v107, v107, v67
	v_pk_add_f16 v107, v107, v68
	s_waitcnt lgkmcnt(4)
	v_pk_add_f16 v107, v107, v63
	;; [unrolled: 3-line block ×6, first 2 shown]
	v_pk_add_f16 v60, v60, v106 neg_lo:[0,1] neg_hi:[0,1]
	s_mov_b32 s12, 0xb770
	v_pk_add_f16 v107, v107, v106
	v_pk_mul_f16 v106, v60, s12 op_sel_hi:[1,0]
	s_movk_i32 s4, 0x3b15
	s_mov_b32 s13, 0xba95
	v_pk_add_f16 v127, v70, v67
	v_pk_add_f16 v67, v67, v70 neg_lo:[0,1] neg_hi:[0,1]
	v_pk_fma_f16 v109, v108, s4, v106 op_sel:[0,0,1] op_sel_hi:[1,0,0]
	v_pk_fma_f16 v106, v108, s4, v106 op_sel:[0,0,1] op_sel_hi:[1,0,0] neg_lo:[0,0,1] neg_hi:[0,0,1]
	s_mov_b32 s2, 0xffff
	s_movk_i32 s5, 0x388b
	v_pk_mul_f16 v70, v67, s13 op_sel_hi:[1,0]
	v_bfi_b32 v110, s2, v109, v106
	v_pk_fma_f16 v128, v127, s5, v70 op_sel:[0,0,1] op_sel_hi:[1,0,0]
	v_pk_fma_f16 v70, v127, s5, v70 op_sel:[0,0,1] op_sel_hi:[1,0,0] neg_lo:[0,0,1] neg_hi:[0,0,1]
	v_pk_add_f16 v110, v59, v110
	v_mul_f16_sdwa v111, v60, s13 dst_sel:DWORD dst_unused:UNUSED_PAD src0_sel:WORD_1 src1_sel:DWORD
	s_mov_b32 s17, 0xbb7b
	v_bfi_b32 v129, s2, v128, v70
	v_fma_f16 v112, v108, s5, v111
	s_mov_b32 s16, 0xb5ac
	v_pk_add_f16 v110, v129, v110
	v_mul_f16_sdwa v129, v67, s17 dst_sel:DWORD dst_unused:UNUSED_PAD src0_sel:WORD_1 src1_sel:DWORD
	v_add_f16_e32 v112, v59, v112
	v_mul_f16_sdwa v113, v108, s5 dst_sel:DWORD dst_unused:UNUSED_PAD src0_sel:WORD_1 src1_sel:DWORD
	s_movk_i32 s24, 0x3a95
	v_fma_f16 v111, v108, s5, -v111
	v_fma_f16 v130, v127, s16, v129
	v_fma_f16 v114, v60, s24, v113
	v_add_f16_e32 v111, v59, v111
	v_fma_f16 v113, v60, s13, v113
	s_mov_b32 s15, 0xbbf1
	v_add_f16_e32 v112, v130, v112
	v_mul_f16_sdwa v130, v127, s16 dst_sel:DWORD dst_unused:UNUSED_PAD src0_sel:WORD_1 src1_sel:DWORD
	v_fma_f16 v129, v127, s16, -v129
	v_add_f16_sdwa v113, v59, v113 dst_sel:DWORD dst_unused:UNUSED_PAD src0_sel:WORD_1 src1_sel:DWORD
	v_mul_f16_sdwa v115, v60, s15 dst_sel:DWORD dst_unused:UNUSED_PAD src0_sel:WORD_1 src1_sel:DWORD
	s_movk_i32 s14, 0x2fb7
	v_add_f16_e32 v111, v129, v111
	v_fma_f16 v129, v67, s17, v130
	s_mov_b32 s22, 0xb3a8
	v_fma_f16 v116, v108, s14, v115
	s_movk_i32 s25, 0x3b7b
	v_add_f16_e32 v113, v129, v113
	v_mul_f16_sdwa v129, v67, s22 dst_sel:DWORD dst_unused:UNUSED_PAD src0_sel:WORD_1 src1_sel:DWORD
	s_mov_b32 s21, 0xbbc4
	v_add_f16_e32 v116, v59, v116
	v_mul_f16_sdwa v117, v108, s14 dst_sel:DWORD dst_unused:UNUSED_PAD src0_sel:WORD_1 src1_sel:DWORD
	s_movk_i32 s20, 0x3bf1
	v_fma_f16 v115, v108, s14, -v115
	v_fma_f16 v131, v67, s25, v130
	v_fma_f16 v130, v127, s21, v129
	;; [unrolled: 1-line block ×3, first 2 shown]
	v_add_f16_e32 v115, v59, v115
	v_fma_f16 v117, v60, s15, v117
	v_add_f16_e32 v116, v130, v116
	v_mul_f16_sdwa v130, v127, s21 dst_sel:DWORD dst_unused:UNUSED_PAD src0_sel:WORD_1 src1_sel:DWORD
	v_fma_f16 v129, v127, s21, -v129
	v_add_f16_sdwa v117, v59, v117 dst_sel:DWORD dst_unused:UNUSED_PAD src0_sel:WORD_1 src1_sel:DWORD
	v_mul_f16_sdwa v119, v60, s17 dst_sel:DWORD dst_unused:UNUSED_PAD src0_sel:WORD_1 src1_sel:DWORD
	s_movk_i32 s23, 0x394e
	v_add_f16_e32 v115, v129, v115
	v_fma_f16 v129, v67, s22, v130
	v_add_f16_sdwa v114, v59, v114 dst_sel:DWORD dst_unused:UNUSED_PAD src0_sel:WORD_1 src1_sel:DWORD
	v_fma_f16 v120, v108, s16, v119
	s_mov_b32 s18, 0xb9fd
	s_movk_i32 s26, 0x33a8
	v_add_f16_e32 v117, v129, v117
	v_mul_f16_sdwa v129, v67, s23 dst_sel:DWORD dst_unused:UNUSED_PAD src0_sel:WORD_1 src1_sel:DWORD
	v_add_f16_e32 v120, v59, v120
	v_mul_f16_sdwa v121, v108, s16 dst_sel:DWORD dst_unused:UNUSED_PAD src0_sel:WORD_1 src1_sel:DWORD
	v_fma_f16 v119, v108, s16, -v119
	v_add_f16_e32 v114, v131, v114
	v_fma_f16 v131, v67, s26, v130
	v_fma_f16 v130, v127, s18, v129
	;; [unrolled: 1-line block ×3, first 2 shown]
	v_add_f16_e32 v119, v59, v119
	v_fma_f16 v121, v60, s17, v121
	s_mov_b32 s19, 0xb94e
	v_add_f16_e32 v120, v130, v120
	v_mul_f16_sdwa v130, v127, s18 dst_sel:DWORD dst_unused:UNUSED_PAD src0_sel:WORD_1 src1_sel:DWORD
	v_fma_f16 v129, v127, s18, -v129
	v_add_f16_sdwa v121, v59, v121 dst_sel:DWORD dst_unused:UNUSED_PAD src0_sel:WORD_1 src1_sel:DWORD
	v_mul_f16_sdwa v123, v60, s19 dst_sel:DWORD dst_unused:UNUSED_PAD src0_sel:WORD_1 src1_sel:DWORD
	v_add_f16_e32 v119, v129, v119
	v_fma_f16 v129, v67, s23, v130
	v_add_f16_sdwa v118, v59, v118 dst_sel:DWORD dst_unused:UNUSED_PAD src0_sel:WORD_1 src1_sel:DWORD
	v_fma_f16 v124, v108, s18, v123
	v_add_f16_e32 v121, v129, v121
	v_mul_f16_sdwa v129, v67, s20 dst_sel:DWORD dst_unused:UNUSED_PAD src0_sel:WORD_1 src1_sel:DWORD
	v_add_f16_e32 v124, v59, v124
	v_mul_f16_sdwa v125, v108, s18 dst_sel:DWORD dst_unused:UNUSED_PAD src0_sel:WORD_1 src1_sel:DWORD
	v_fma_f16 v123, v108, s18, -v123
	v_add_f16_e32 v118, v131, v118
	v_fma_f16 v131, v67, s19, v130
	v_fma_f16 v130, v127, s14, v129
	;; [unrolled: 1-line block ×3, first 2 shown]
	v_add_f16_e32 v123, v59, v123
	v_fma_f16 v125, v60, s19, v125
	v_add_f16_e32 v124, v130, v124
	v_mul_f16_sdwa v130, v127, s14 dst_sel:DWORD dst_unused:UNUSED_PAD src0_sel:WORD_1 src1_sel:DWORD
	v_fma_f16 v129, v127, s14, -v129
	v_add_f16_sdwa v125, v59, v125 dst_sel:DWORD dst_unused:UNUSED_PAD src0_sel:WORD_1 src1_sel:DWORD
	v_add_f16_e32 v123, v129, v123
	v_fma_f16 v129, v67, s20, v130
	v_add_f16_e32 v125, v129, v125
	v_pk_add_f16 v129, v69, v68
	v_pk_add_f16 v68, v68, v69 neg_lo:[0,1] neg_hi:[0,1]
	v_add_f16_sdwa v122, v59, v122 dst_sel:DWORD dst_unused:UNUSED_PAD src0_sel:WORD_1 src1_sel:DWORD
	v_pk_mul_f16 v69, v68, s15 op_sel_hi:[1,0]
	v_add_f16_sdwa v126, v59, v126 dst_sel:DWORD dst_unused:UNUSED_PAD src0_sel:WORD_1 src1_sel:DWORD
	v_add_f16_e32 v122, v131, v122
	v_fma_f16 v131, v67, s15, v130
	v_pk_fma_f16 v130, v129, s14, v69 op_sel:[0,0,1] op_sel_hi:[1,0,0]
	v_pk_fma_f16 v69, v129, s14, v69 op_sel:[0,0,1] op_sel_hi:[1,0,0] neg_lo:[0,0,1] neg_hi:[0,0,1]
	v_add_f16_e32 v126, v131, v126
	v_bfi_b32 v131, s2, v130, v69
	v_pk_add_f16 v110, v131, v110
	v_mul_f16_sdwa v131, v68, s22 dst_sel:DWORD dst_unused:UNUSED_PAD src0_sel:WORD_1 src1_sel:DWORD
	v_fma_f16 v132, v129, s21, v131
	v_add_f16_e32 v112, v132, v112
	v_mul_f16_sdwa v132, v129, s21 dst_sel:DWORD dst_unused:UNUSED_PAD src0_sel:WORD_1 src1_sel:DWORD
	v_fma_f16 v131, v129, s21, -v131
	v_add_f16_e32 v111, v131, v111
	v_fma_f16 v131, v68, s22, v132
	v_add_f16_e32 v113, v131, v113
	v_mul_f16_sdwa v131, v68, s25 dst_sel:DWORD dst_unused:UNUSED_PAD src0_sel:WORD_1 src1_sel:DWORD
	v_fma_f16 v133, v68, s26, v132
	v_fma_f16 v132, v129, s16, v131
	v_add_f16_e32 v116, v132, v116
	v_mul_f16_sdwa v132, v129, s16 dst_sel:DWORD dst_unused:UNUSED_PAD src0_sel:WORD_1 src1_sel:DWORD
	v_fma_f16 v131, v129, s16, -v131
	v_add_f16_e32 v115, v131, v115
	v_fma_f16 v131, v68, s25, v132
	s_movk_i32 s27, 0x3770
	v_add_f16_e32 v117, v131, v117
	v_mul_f16_sdwa v131, v68, s27 dst_sel:DWORD dst_unused:UNUSED_PAD src0_sel:WORD_1 src1_sel:DWORD
	v_add_f16_e32 v114, v133, v114
	v_fma_f16 v133, v68, s17, v132
	v_fma_f16 v132, v129, s4, v131
	v_add_f16_e32 v120, v132, v120
	v_mul_f16_sdwa v132, v129, s4 dst_sel:DWORD dst_unused:UNUSED_PAD src0_sel:WORD_1 src1_sel:DWORD
	v_fma_f16 v131, v129, s4, -v131
	v_add_f16_e32 v119, v131, v119
	v_fma_f16 v131, v68, s27, v132
	v_add_f16_e32 v121, v131, v121
	v_mul_f16_sdwa v131, v68, s13 dst_sel:DWORD dst_unused:UNUSED_PAD src0_sel:WORD_1 src1_sel:DWORD
	v_add_f16_e32 v118, v133, v118
	v_fma_f16 v133, v68, s12, v132
	v_fma_f16 v132, v129, s5, v131
	v_add_f16_e32 v124, v132, v124
	v_mul_f16_sdwa v132, v129, s5 dst_sel:DWORD dst_unused:UNUSED_PAD src0_sel:WORD_1 src1_sel:DWORD
	v_fma_f16 v131, v129, s5, -v131
	v_add_f16_e32 v123, v131, v123
	v_fma_f16 v131, v68, s13, v132
	v_add_f16_e32 v125, v131, v125
	v_pk_add_f16 v131, v66, v63
	v_pk_add_f16 v63, v63, v66 neg_lo:[0,1] neg_hi:[0,1]
	v_pk_mul_f16 v66, v63, s17 op_sel_hi:[1,0]
	v_add_f16_e32 v122, v133, v122
	v_fma_f16 v133, v68, s24, v132
	v_pk_fma_f16 v132, v131, s16, v66 op_sel:[0,0,1] op_sel_hi:[1,0,0]
	v_pk_fma_f16 v66, v131, s16, v66 op_sel:[0,0,1] op_sel_hi:[1,0,0] neg_lo:[0,0,1] neg_hi:[0,0,1]
	v_add_f16_e32 v126, v133, v126
	v_bfi_b32 v133, s2, v132, v66
	v_pk_add_f16 v110, v133, v110
	v_mul_f16_sdwa v133, v63, s23 dst_sel:DWORD dst_unused:UNUSED_PAD src0_sel:WORD_1 src1_sel:DWORD
	v_fma_f16 v134, v131, s18, v133
	v_add_f16_e32 v112, v134, v112
	v_mul_f16_sdwa v134, v131, s18 dst_sel:DWORD dst_unused:UNUSED_PAD src0_sel:WORD_1 src1_sel:DWORD
	v_fma_f16 v133, v131, s18, -v133
	v_add_f16_e32 v111, v133, v111
	v_fma_f16 v133, v63, s23, v134
	v_add_f16_e32 v113, v133, v113
	v_mul_f16_sdwa v133, v63, s27 dst_sel:DWORD dst_unused:UNUSED_PAD src0_sel:WORD_1 src1_sel:DWORD
	v_fma_f16 v135, v63, s19, v134
	v_fma_f16 v134, v131, s4, v133
	v_add_f16_e32 v116, v134, v116
	v_mul_f16_sdwa v134, v131, s4 dst_sel:DWORD dst_unused:UNUSED_PAD src0_sel:WORD_1 src1_sel:DWORD
	v_fma_f16 v133, v131, s4, -v133
	v_add_f16_e32 v115, v133, v115
	v_fma_f16 v133, v63, s27, v134
	v_add_f16_e32 v117, v133, v117
	v_mul_f16_sdwa v133, v63, s15 dst_sel:DWORD dst_unused:UNUSED_PAD src0_sel:WORD_1 src1_sel:DWORD
	v_add_f16_e32 v114, v135, v114
	v_fma_f16 v135, v63, s12, v134
	v_fma_f16 v134, v131, s14, v133
	v_add_f16_e32 v120, v134, v120
	v_mul_f16_sdwa v134, v131, s14 dst_sel:DWORD dst_unused:UNUSED_PAD src0_sel:WORD_1 src1_sel:DWORD
	v_fma_f16 v133, v131, s14, -v133
	v_add_f16_e32 v119, v133, v119
	v_fma_f16 v133, v63, s15, v134
	v_add_f16_e32 v121, v133, v121
	v_mul_f16_sdwa v133, v63, s26 dst_sel:DWORD dst_unused:UNUSED_PAD src0_sel:WORD_1 src1_sel:DWORD
	v_add_f16_e32 v118, v135, v118
	v_fma_f16 v135, v63, s20, v134
	v_fma_f16 v134, v131, s21, v133
	v_add_f16_e32 v124, v134, v124
	v_mul_f16_sdwa v134, v131, s21 dst_sel:DWORD dst_unused:UNUSED_PAD src0_sel:WORD_1 src1_sel:DWORD
	v_fma_f16 v133, v131, s21, -v133
	v_add_f16_e32 v123, v133, v123
	v_fma_f16 v133, v63, s26, v134
	v_add_f16_e32 v125, v133, v125
	v_pk_add_f16 v133, v65, v64
	v_pk_add_f16 v64, v64, v65 neg_lo:[0,1] neg_hi:[0,1]
	v_pk_mul_f16 v65, v64, s19 op_sel_hi:[1,0]
	v_add_f16_e32 v122, v135, v122
	v_fma_f16 v135, v63, s22, v134
	v_pk_fma_f16 v134, v133, s18, v65 op_sel:[0,0,1] op_sel_hi:[1,0,0]
	v_pk_fma_f16 v65, v133, s18, v65 op_sel:[0,0,1] op_sel_hi:[1,0,0] neg_lo:[0,0,1] neg_hi:[0,0,1]
	v_add_f16_e32 v126, v135, v126
	v_bfi_b32 v135, s2, v134, v65
	v_pk_add_f16 v110, v135, v110
	v_mul_f16_sdwa v135, v64, s20 dst_sel:DWORD dst_unused:UNUSED_PAD src0_sel:WORD_1 src1_sel:DWORD
	v_fma_f16 v136, v133, s14, v135
	v_add_f16_e32 v112, v136, v112
	v_mul_f16_sdwa v136, v133, s14 dst_sel:DWORD dst_unused:UNUSED_PAD src0_sel:WORD_1 src1_sel:DWORD
	v_fma_f16 v135, v133, s14, -v135
	v_add_f16_e32 v111, v135, v111
	v_fma_f16 v135, v64, s20, v136
	v_add_f16_e32 v113, v135, v113
	v_mul_f16_sdwa v135, v64, s13 dst_sel:DWORD dst_unused:UNUSED_PAD src0_sel:WORD_1 src1_sel:DWORD
	v_fma_f16 v137, v64, s15, v136
	v_fma_f16 v136, v133, s5, v135
	v_add_f16_e32 v116, v136, v116
	v_mul_f16_sdwa v136, v133, s5 dst_sel:DWORD dst_unused:UNUSED_PAD src0_sel:WORD_1 src1_sel:DWORD
	v_fma_f16 v135, v133, s5, -v135
	v_add_f16_e32 v115, v135, v115
	v_fma_f16 v135, v64, s13, v136
	;; [unrolled: 47-line block ×3, first 2 shown]
	v_add_f16_e32 v117, v137, v117
	v_mul_f16_sdwa v137, v61, s24 dst_sel:DWORD dst_unused:UNUSED_PAD src0_sel:WORD_1 src1_sel:DWORD
	v_add_f16_e32 v114, v139, v114
	v_fma_f16 v139, v61, s23, v138
	v_fma_f16 v138, v135, s5, v137
	v_add_f16_e32 v120, v138, v120
	v_mul_f16_sdwa v138, v135, s5 dst_sel:DWORD dst_unused:UNUSED_PAD src0_sel:WORD_1 src1_sel:DWORD
	v_fma_f16 v137, v135, s5, -v137
	v_add_f16_e32 v119, v137, v119
	v_fma_f16 v137, v61, s24, v138
	v_add_f16_e32 v121, v137, v121
	v_mul_f16_sdwa v137, v61, s17 dst_sel:DWORD dst_unused:UNUSED_PAD src0_sel:WORD_1 src1_sel:DWORD
	v_add_f16_e32 v118, v139, v118
	v_fma_f16 v139, v61, s13, v138
	v_fma_f16 v138, v135, s16, v137
	v_add_f16_e32 v124, v138, v124
	v_mul_f16_sdwa v138, v135, s16 dst_sel:DWORD dst_unused:UNUSED_PAD src0_sel:WORD_1 src1_sel:DWORD
	v_add_f16_e32 v122, v139, v122
	v_fma_f16 v139, v61, s25, v138
	s_barrier
	v_add_f16_e32 v126, v139, v126
	ds_write2_b32 v86, v107, v110 offset1:1
	v_pack_b32_f16 v107, v116, v118
	v_pack_b32_f16 v110, v112, v114
	ds_write2_b32 v86, v110, v107 offset0:2 offset1:3
	v_pack_b32_f16 v107, v124, v126
	v_pack_b32_f16 v110, v120, v122
	ds_write2_b32 v86, v110, v107 offset0:4 offset1:5
	v_pk_mul_f16 v107, v108, s21 op_sel_hi:[1,0]
	v_pk_fma_f16 v108, v60, s22, v107 op_sel:[0,0,1] op_sel_hi:[1,0,0]
	v_pk_fma_f16 v60, v60, s22, v107 op_sel:[0,0,1] op_sel_hi:[1,0,0] neg_lo:[1,0,0] neg_hi:[1,0,0]
	v_alignbit_b32 v107, s0, v59, 16
	v_alignbit_b32 v110, s0, v108, 16
	v_pk_add_f16 v107, v107, v108
	v_pk_mul_f16 v108, v127, s4 op_sel_hi:[1,0]
	v_pk_add_f16 v60, v59, v60 op_sel:[1,0] op_sel_hi:[0,1]
	v_pk_fma_f16 v112, v67, s27, v108 op_sel:[0,0,1] op_sel_hi:[1,0,0]
	v_pk_fma_f16 v67, v67, s27, v108 op_sel:[0,0,1] op_sel_hi:[1,0,0] neg_lo:[1,0,0] neg_hi:[1,0,0]
	v_pk_add_f16 v60, v67, v60
	v_pk_add_f16 v67, v112, v107
	v_pk_mul_f16 v107, v129, s18 op_sel_hi:[1,0]
	v_pk_fma_f16 v108, v68, s19, v107 op_sel:[0,0,1] op_sel_hi:[1,0,0]
	v_pk_fma_f16 v68, v68, s19, v107 op_sel:[0,0,1] op_sel_hi:[1,0,0] neg_lo:[1,0,0] neg_hi:[1,0,0]
	v_pk_add_f16 v60, v68, v60
	v_pk_mul_f16 v68, v131, s5 op_sel_hi:[1,0]
	v_pk_add_f16 v67, v108, v67
	v_pk_fma_f16 v107, v63, s24, v68 op_sel:[0,0,1] op_sel_hi:[1,0,0]
	v_pk_fma_f16 v63, v63, s24, v68 op_sel:[0,0,1] op_sel_hi:[1,0,0] neg_lo:[1,0,0] neg_hi:[1,0,0]
	v_pk_add_f16 v110, v59, v110
	v_alignbit_b32 v114, s0, v112, 16
	v_pk_add_f16 v60, v63, v60
	v_pk_add_f16 v63, v107, v67
	v_pk_mul_f16 v67, v133, s16 op_sel_hi:[1,0]
	v_pk_add_f16 v110, v114, v110
	v_alignbit_b32 v112, s0, v108, 16
	v_pk_fma_f16 v68, v64, s17, v67 op_sel:[0,0,1] op_sel_hi:[1,0,0]
	v_pk_fma_f16 v64, v64, s17, v67 op_sel:[0,0,1] op_sel_hi:[1,0,0] neg_lo:[1,0,0] neg_hi:[1,0,0]
	v_pk_add_f16 v110, v112, v110
	v_alignbit_b32 v108, s0, v107, 16
	v_pk_add_f16 v60, v64, v60
	v_pk_mul_f16 v64, v135, s14 op_sel_hi:[1,0]
	v_fma_f16 v137, v135, s16, -v137
	v_pk_add_f16 v108, v108, v110
	v_alignbit_b32 v107, s0, v68, 16
	v_pk_fma_f16 v67, v61, s20, v64 op_sel:[0,0,1] op_sel_hi:[1,0,0]
	v_add_f16_e32 v123, v137, v123
	v_fma_f16 v137, v61, s17, v138
	v_pk_add_f16 v107, v107, v108
	v_pk_add_f16 v63, v68, v63
	v_alignbit_b32 v68, s0, v67, 16
	v_pk_fma_f16 v61, v61, s20, v64 op_sel:[0,0,1] op_sel_hi:[1,0,0] neg_lo:[1,0,0] neg_hi:[1,0,0]
	v_pk_add_f16 v68, v68, v107
	v_pk_add_f16 v60, v61, v60
	;; [unrolled: 1-line block ×3, first 2 shown]
	v_add_f16_e32 v125, v137, v125
	v_alignbit_b32 v61, v61, v60, 16
	v_pack_b32_f16 v60, v68, v60
	ds_write2_b32 v86, v60, v61 offset0:6 offset1:7
	v_pack_b32_f16 v60, v119, v121
	v_pack_b32_f16 v61, v123, v125
	ds_write2_b32 v86, v61, v60 offset0:8 offset1:9
	v_pack_b32_f16 v60, v111, v113
	v_pack_b32_f16 v61, v115, v117
	ds_write2_b32 v86, v61, v60 offset0:10 offset1:11
	v_bfi_b32 v60, s2, v106, v109
	v_pk_add_f16 v59, v59, v60
	v_bfi_b32 v60, s2, v70, v128
	v_pk_add_f16 v59, v60, v59
	;; [unrolled: 2-line block ×6, first 2 shown]
	ds_write_b32 v86, v59 offset:48
	s_and_saveexec_b64 s[2:3], s[0:1]
	s_cbranch_execz .LBB0_13
; %bb.12:
	v_add_f16_e32 v59, v93, v99
	v_mul_f16_e32 v60, 0xbbc4, v59
	v_sub_f16_e32 v61, v52, v88
	v_add_f16_e32 v63, v89, v100
	v_fma_f16 v62, v61, s26, v60
	v_mul_f16_e32 v64, 0x3b15, v63
	v_sub_f16_e32 v65, v53, v26
	v_add_f16_e32 v62, v98, v62
	v_fma_f16 v66, v65, s12, v64
	v_add_f16_e32 v62, v66, v62
	v_add_f16_e32 v66, v90, v101
	v_mul_f16_e32 v67, 0xb9fd, v66
	v_sub_f16_e32 v68, v54, v25
	v_fma_f16 v69, v68, s23, v67
	v_add_f16_e32 v62, v69, v62
	v_add_f16_e32 v69, v91, v102
	v_mul_f16_e32 v70, 0x388b, v69
	v_sub_f16_e32 v86, v55, v24
	;; [unrolled: 5-line block ×4, first 2 shown]
	v_fma_f16 v112, v111, s15, v110
	v_sub_f16_e32 v113, v99, v93
	v_add_f16_e32 v62, v112, v62
	v_add_f16_e32 v112, v88, v52
	v_mul_f16_e32 v114, 0xb3a8, v113
	v_sub_f16_e32 v117, v100, v89
	v_fma_f16 v115, v112, s21, v114
	v_add_f16_e32 v116, v26, v53
	v_mul_f16_e32 v118, 0x3770, v117
	v_add_f16_e32 v115, v51, v115
	v_fma_f16 v119, v116, s4, v118
	v_sub_f16_e32 v120, v101, v90
	v_add_f16_e32 v115, v119, v115
	v_add_f16_e32 v119, v25, v54
	v_mul_f16_e32 v121, 0xb94e, v120
	v_fma_f16 v122, v119, s18, v121
	v_sub_f16_e32 v123, v102, v91
	v_add_f16_e32 v115, v122, v115
	v_add_f16_e32 v122, v24, v55
	v_mul_f16_e32 v124, 0x3a95, v123
	v_fma_f16 v125, v122, s5, v124
	v_sub_f16_e32 v126, v103, v92
	v_add_f16_e32 v115, v125, v115
	v_add_f16_e32 v125, v23, v56
	v_mul_f16_e32 v127, 0xbb7b, v126
	v_fma_f16 v128, v125, s16, v127
	v_sub_f16_e32 v129, v104, v105
	v_add_f16_e32 v115, v128, v115
	v_add_f16_e32 v128, v58, v57
	v_mul_f16_e32 v130, 0x3bf1, v129
	v_fma_f16 v131, v128, s14, v130
	v_add_f16_e32 v115, v131, v115
	v_mul_f16_e32 v131, 0xb9fd, v59
	v_fma_f16 v132, v61, s23, v131
	v_mul_f16_e32 v133, 0x2fb7, v63
	v_add_f16_e32 v132, v98, v132
	v_fma_f16 v134, v65, s15, v133
	v_add_f16_e32 v132, v134, v132
	v_mul_f16_e32 v134, 0x388b, v66
	v_fma_f16 v135, v68, s24, v134
	v_add_f16_e32 v132, v135, v132
	v_mul_f16_e32 v135, 0xbbc4, v69
	v_fma_f16 v136, v86, s22, v135
	v_add_f16_e32 v132, v136, v132
	v_mul_f16_e32 v136, 0x3b15, v106
	v_fma_f16 v137, v108, s12, v136
	v_add_f16_e32 v132, v137, v132
	v_mul_f16_e32 v137, 0xb5ac, v109
	v_fma_f16 v138, v111, s25, v137
	v_add_f16_e32 v132, v138, v132
	v_mul_f16_e32 v138, 0xb94e, v113
	v_fma_f16 v139, v112, s18, v138
	v_mul_f16_e32 v140, 0x3bf1, v117
	v_add_f16_e32 v139, v51, v139
	v_fma_f16 v141, v116, s14, v140
	v_add_f16_e32 v139, v141, v139
	v_mul_f16_e32 v141, 0xba95, v120
	v_fma_f16 v142, v119, s5, v141
	v_add_f16_e32 v139, v142, v139
	v_mul_f16_e32 v142, 0x33a8, v123
	v_fma_f16 v143, v122, s21, v142
	v_add_f16_e32 v139, v143, v139
	v_mul_f16_e32 v143, 0x3770, v126
	v_fma_f16 v144, v125, s4, v143
	v_add_f16_e32 v139, v144, v139
	v_mul_f16_e32 v144, 0xbb7b, v129
	;; [unrolled: 18-line block ×3, first 2 shown]
	v_fma_f16 v152, v111, s13, v151
	v_add_f16_e32 v52, v52, v51
	v_add_f16_e32 v146, v152, v146
	v_mul_f16_e32 v152, 0xbb7b, v113
	v_add_f16_e32 v52, v53, v52
	v_fma_f16 v153, v112, s16, v152
	v_mul_f16_e32 v154, 0x394e, v117
	v_add_f16_e32 v52, v54, v52
	v_add_f16_e32 v153, v51, v153
	v_fma_f16 v155, v116, s18, v154
	v_add_f16_e32 v52, v55, v52
	v_add_f16_e32 v153, v155, v153
	v_mul_f16_e32 v155, 0x3770, v120
	v_add_f16_e32 v52, v56, v52
	v_fma_f16 v156, v119, s4, v155
	v_add_f16_e32 v52, v57, v52
	v_add_f16_e32 v153, v156, v153
	v_mul_f16_e32 v156, 0xbbf1, v123
	;; [unrolled: 5-line block ×3, first 2 shown]
	v_add_f16_e32 v23, v24, v23
	v_fma_f16 v158, v125, s21, v157
	v_add_f16_e32 v23, v25, v23
	v_fma_f16 v25, v61, s22, v60
	v_add_f16_e32 v153, v158, v153
	v_mul_f16_e32 v158, 0x3a95, v129
	v_add_f16_e32 v23, v26, v23
	v_add_f16_e32 v25, v98, v25
	v_fma_f16 v26, v65, s27, v64
	v_fma_f16 v159, v128, s5, v158
	v_add_f16_e32 v25, v26, v25
	v_fma_f16 v26, v68, s19, v67
	v_add_f16_e32 v153, v159, v153
	v_mul_f16_e32 v159, 0x2fb7, v59
	v_add_f16_e32 v25, v26, v25
	v_fma_f16 v26, v86, s24, v70
	v_fma_f16 v160, v61, s20, v159
	v_mul_f16_e32 v161, 0xbbc4, v63
	v_add_f16_e32 v25, v26, v25
	v_fma_f16 v26, v108, s17, v107
	v_add_f16_e32 v160, v98, v160
	v_fma_f16 v162, v65, s26, v161
	;; [unrolled: 2-line block ×3, first 2 shown]
	v_add_f16_e32 v160, v162, v160
	v_mul_f16_e32 v162, 0xb5ac, v66
	v_add_f16_e32 v25, v26, v25
	v_fma_f16 v26, v112, s21, -v114
	v_fma_f16 v163, v68, s17, v162
	v_add_f16_e32 v26, v51, v26
	v_fma_f16 v52, v116, s4, -v118
	v_add_f16_e32 v160, v163, v160
	v_mul_f16_e32 v163, 0x3b15, v69
	v_add_f16_e32 v26, v52, v26
	v_fma_f16 v52, v119, s18, -v121
	v_fma_f16 v164, v86, s12, v163
	v_add_f16_e32 v26, v52, v26
	v_fma_f16 v52, v122, s5, -v124
	;; [unrolled: 7-line block ×3, first 2 shown]
	v_add_f16_e32 v160, v165, v160
	v_mul_f16_e32 v165, 0xb9fd, v109
	v_add_f16_e32 v26, v52, v26
	v_fma_f16 v52, v61, s19, v131
	v_fma_f16 v166, v111, s23, v165
	v_add_f16_e32 v52, v98, v52
	v_fma_f16 v53, v65, s20, v133
	v_add_f16_e32 v160, v166, v160
	v_mul_f16_e32 v166, 0xbbf1, v113
	v_add_f16_e32 v52, v53, v52
	v_fma_f16 v53, v68, s13, v134
	v_fma_f16 v167, v112, s14, v166
	v_mul_f16_e32 v168, 0xb3a8, v117
	v_add_f16_e32 v52, v53, v52
	v_fma_f16 v53, v86, s26, v135
	v_add_f16_e32 v167, v51, v167
	v_fma_f16 v169, v116, s21, v168
	;; [unrolled: 2-line block ×3, first 2 shown]
	v_add_f16_e32 v167, v169, v167
	v_mul_f16_e32 v169, 0x3b7b, v120
	v_add_f16_e32 v52, v53, v52
	v_fma_f16 v53, v111, s17, v137
	v_fma_f16 v170, v119, s16, v169
	v_add_f16_e32 v52, v53, v52
	v_fma_f16 v53, v112, s18, -v138
	v_add_f16_e32 v167, v170, v167
	v_mul_f16_e32 v170, 0x3770, v123
	v_add_f16_e32 v53, v51, v53
	v_fma_f16 v54, v116, s14, -v140
	v_fma_f16 v171, v122, s4, v170
	v_add_f16_e32 v53, v54, v53
	v_fma_f16 v54, v119, s5, -v141
	v_add_f16_e32 v167, v171, v167
	v_mul_f16_e32 v171, 0xba95, v126
	v_add_f16_e32 v53, v54, v53
	v_fma_f16 v54, v122, s21, -v142
	;; [unrolled: 7-line block ×3, first 2 shown]
	v_fma_f16 v173, v128, s18, v172
	v_add_f16_e32 v53, v54, v53
	v_fma_f16 v54, v61, s17, v145
	v_add_f16_e32 v167, v173, v167
	v_mul_f16_e32 v173, 0x388b, v59
	v_add_f16_e32 v54, v98, v54
	v_fma_f16 v55, v65, s23, v147
	v_fma_f16 v174, v61, s24, v173
	v_mul_f16_e32 v175, 0xb5ac, v63
	v_add_f16_e32 v54, v55, v54
	v_fma_f16 v55, v68, s27, v148
	v_add_f16_e32 v174, v98, v174
	v_fma_f16 v176, v65, s25, v175
	;; [unrolled: 2-line block ×3, first 2 shown]
	v_add_f16_e32 v174, v176, v174
	v_mul_f16_e32 v176, 0xbbc4, v66
	v_add_f16_e32 v54, v55, v54
	v_fma_f16 v55, v108, s26, v150
	v_fma_f16 v177, v68, s26, v176
	v_add_f16_e32 v54, v55, v54
	v_fma_f16 v55, v111, s24, v151
	v_add_f16_e32 v174, v177, v174
	v_mul_f16_e32 v177, 0xb9fd, v69
	v_add_f16_e32 v54, v55, v54
	v_fma_f16 v55, v112, s16, -v152
	v_fma_f16 v178, v86, s19, v177
	v_add_f16_e32 v55, v51, v55
	v_fma_f16 v56, v116, s18, -v154
	v_add_f16_e32 v174, v178, v174
	v_mul_f16_e32 v178, 0x2fb7, v106
	v_add_f16_e32 v55, v56, v55
	v_fma_f16 v56, v119, s4, -v155
	v_fma_f16 v179, v108, s15, v178
	v_add_f16_e32 v55, v56, v55
	v_fma_f16 v56, v122, s14, -v156
	;; [unrolled: 7-line block ×3, first 2 shown]
	v_add_f16_e32 v174, v180, v174
	v_mul_f16_e32 v180, 0xba95, v113
	v_add_f16_e32 v55, v56, v55
	v_fma_f16 v56, v61, s15, v159
	v_fma_f16 v181, v112, s5, v180
	v_mul_f16_e32 v182, 0xbb7b, v117
	v_add_f16_e32 v56, v98, v56
	v_fma_f16 v57, v65, s22, v161
	v_add_f16_e32 v181, v51, v181
	v_fma_f16 v183, v116, s16, v182
	;; [unrolled: 2-line block ×3, first 2 shown]
	v_add_f16_e32 v181, v183, v181
	v_mul_f16_e32 v183, 0xb3a8, v120
	v_add_f16_e32 v56, v57, v56
	v_fma_f16 v57, v86, s27, v163
	v_fma_f16 v184, v119, s21, v183
	v_add_f16_e32 v56, v57, v56
	v_fma_f16 v57, v108, s13, v164
	v_add_f16_e32 v181, v184, v181
	v_mul_f16_e32 v184, 0x394e, v123
	v_add_f16_e32 v56, v57, v56
	v_fma_f16 v57, v111, s19, v165
	v_fma_f16 v185, v122, s18, v184
	v_add_f16_e32 v56, v57, v56
	v_fma_f16 v57, v112, s14, -v166
	v_add_f16_e32 v181, v185, v181
	v_mul_f16_e32 v185, 0x3bf1, v126
	v_add_f16_e32 v57, v51, v57
	v_fma_f16 v58, v116, s21, -v168
	v_fma_f16 v186, v125, s14, v185
	v_add_f16_e32 v57, v58, v57
	v_fma_f16 v58, v119, s16, -v169
	v_add_f16_e32 v181, v186, v181
	v_mul_f16_e32 v186, 0x3770, v129
	v_add_f16_e32 v57, v58, v57
	v_fma_f16 v58, v122, s4, -v170
	v_fma_f16 v187, v128, s4, v186
	v_mul_f16_e32 v59, 0x3b15, v59
	v_add_f16_e32 v57, v58, v57
	v_fma_f16 v58, v125, s5, -v171
	v_add_f16_e32 v181, v187, v181
	v_fma_f16 v187, v61, s27, v59
	v_mul_f16_e32 v63, 0x388b, v63
	v_add_f16_e32 v57, v58, v57
	v_fma_f16 v58, v128, s18, -v172
	v_add_f16_e32 v187, v98, v187
	v_fma_f16 v188, v65, s24, v63
	v_mul_f16_e32 v66, 0x2fb7, v66
	v_add_f16_e32 v24, v99, v98
	v_add_f16_e32 v57, v58, v57
	v_fma_f16 v58, v61, s13, v173
	v_fma_f16 v59, v61, s12, v59
	v_add_f16_e32 v187, v188, v187
	v_fma_f16 v188, v68, s20, v66
	v_mul_f16_e32 v69, 0xb5ac, v69
	v_add_f16_e32 v24, v100, v24
	v_add_f16_e32 v58, v98, v58
	v_fma_f16 v60, v65, s17, v175
	v_add_f16_e32 v59, v98, v59
	v_fma_f16 v61, v65, s13, v63
	v_add_f16_e32 v187, v188, v187
	v_fma_f16 v188, v86, s25, v69
	v_mul_f16_e32 v106, 0xb9fd, v106
	v_add_f16_e32 v24, v101, v24
	v_add_f16_e32 v58, v60, v58
	v_fma_f16 v60, v68, s22, v176
	v_add_f16_e32 v59, v61, v59
	;; [unrolled: 8-line block ×5, first 2 shown]
	v_fma_f16 v61, v111, s22, v109
	v_add_f16_e32 v188, v51, v188
	v_fma_f16 v189, v116, s5, v117
	v_mul_f16_e32 v120, 0xbbf1, v120
	v_add_f16_e32 v24, v105, v24
	v_add_f16_e32 v58, v60, v58
	v_fma_f16 v60, v112, s5, -v180
	v_add_f16_e32 v59, v61, v59
	v_fma_f16 v61, v112, s4, -v113
	v_add_f16_e32 v188, v189, v188
	v_fma_f16 v189, v119, s14, v120
	v_mul_f16_e32 v123, 0xbb7b, v123
	v_add_f16_e32 v24, v92, v24
	v_add_f16_e32 v60, v51, v60
	v_add_f16_e32 v51, v51, v61
	v_fma_f16 v61, v116, s5, -v117
	v_add_f16_e32 v188, v189, v188
	v_fma_f16 v189, v122, s16, v123
	v_mul_f16_e32 v126, 0xb94e, v126
	v_add_f16_e32 v24, v91, v24
	v_add_f16_e32 v51, v61, v51
	v_fma_f16 v61, v119, s14, -v120
	v_add_f16_e32 v188, v189, v188
	v_fma_f16 v189, v125, s18, v126
	v_mul_f16_e32 v129, 0xb3a8, v129
	v_add_f16_e32 v24, v90, v24
	v_add_f16_e32 v51, v61, v51
	v_fma_f16 v61, v122, s16, -v123
	v_add_f16_e32 v188, v189, v188
	v_fma_f16 v189, v128, s21, v129
	v_add_f16_e32 v24, v89, v24
	v_add_f16_e32 v51, v61, v51
	v_fma_f16 v61, v125, s18, -v126
	v_add_f16_e32 v188, v189, v188
	v_add_f16_e32 v23, v88, v23
	;; [unrolled: 1-line block ×3, first 2 shown]
	v_fma_f16 v64, v116, s16, -v182
	v_add_f16_e32 v51, v61, v51
	v_fma_f16 v61, v128, s21, -v129
	v_add_f16_e32 v60, v64, v60
	;; [unrolled: 2-line block ×3, first 2 shown]
	v_lshlrev_b32_e32 v61, 2, v87
	v_pack_b32_f16 v63, v188, v187
	v_pack_b32_f16 v23, v23, v24
	v_add_f16_e32 v60, v64, v60
	v_fma_f16 v64, v122, s18, -v184
	ds_write2_b32 v61, v23, v63 offset1:1
	v_pack_b32_f16 v23, v167, v160
	v_pack_b32_f16 v24, v181, v174
	v_add_f16_e32 v60, v64, v60
	v_fma_f16 v64, v125, s14, -v185
	ds_write2_b32 v61, v24, v23 offset0:2 offset1:3
	v_pack_b32_f16 v23, v139, v132
	v_pack_b32_f16 v24, v153, v146
	v_add_f16_e32 v60, v64, v60
	v_fma_f16 v64, v128, s4, -v186
	ds_write2_b32 v61, v24, v23 offset0:4 offset1:5
	v_pack_b32_f16 v23, v26, v25
	v_pack_b32_f16 v24, v115, v62
	v_add_f16_e32 v60, v64, v60
	ds_write2_b32 v61, v24, v23 offset0:6 offset1:7
	v_pack_b32_f16 v23, v55, v54
	v_pack_b32_f16 v24, v53, v52
	ds_write2_b32 v61, v24, v23 offset0:8 offset1:9
	v_pack_b32_f16 v23, v60, v58
	v_pack_b32_f16 v24, v57, v56
	ds_write2_b32 v61, v24, v23 offset0:10 offset1:11
	v_pack_b32_f16 v23, v51, v59
	ds_write_b32 v61, v23 offset:48
.LBB0_13:
	s_or_b64 exec, exec, s[2:3]
	v_add_u32_e32 v53, 0x200, v71
	s_waitcnt lgkmcnt(0)
	s_barrier
	ds_read2_b32 v[56:57], v53 offset0:54 offset1:145
	ds_read2_b32 v[58:59], v71 offset1:91
	v_add_u32_e32 v51, 0x800, v71
	ds_read2_b32 v[60:61], v51 offset0:34 offset1:125
	v_add_u32_e32 v24, 0xa00, v71
	ds_read2_b32 v[62:63], v24 offset0:88 offset1:179
	s_waitcnt lgkmcnt(3)
	v_lshrrev_b32_e32 v70, 16, v57
	v_add_u32_e32 v54, 0x1000, v71
	ds_read2_b32 v[64:65], v54 offset0:68 offset1:159
	v_mul_f16_sdwa v114, v0, v70 dst_sel:DWORD dst_unused:UNUSED_PAD src0_sel:WORD_1 src1_sel:DWORD
	v_add_u32_e32 v26, 0x1200, v71
	s_waitcnt lgkmcnt(2)
	v_lshrrev_b32_e32 v92, 16, v60
	v_fma_f16 v114, v0, v57, v114
	v_mul_f16_sdwa v57, v0, v57 dst_sel:DWORD dst_unused:UNUSED_PAD src0_sel:WORD_1 src1_sel:DWORD
	ds_read2_b32 v[66:67], v26 offset0:122 offset1:213
	v_fma_f16 v0, v0, v70, -v57
	v_mul_f16_sdwa v57, v1, v92 dst_sel:DWORD dst_unused:UNUSED_PAD src0_sel:WORD_1 src1_sel:DWORD
	v_add_u32_e32 v23, 0x1800, v71
	s_waitcnt lgkmcnt(2)
	v_lshrrev_b32_e32 v93, 16, v63
	v_fma_f16 v57, v1, v60, v57
	v_mul_f16_sdwa v60, v1, v60 dst_sel:DWORD dst_unused:UNUSED_PAD src0_sel:WORD_1 src1_sel:DWORD
	ds_read2_b32 v[68:69], v23 offset0:102 offset1:193
	v_fma_f16 v1, v1, v92, -v60
	v_mul_f16_sdwa v60, v2, v93 dst_sel:DWORD dst_unused:UNUSED_PAD src0_sel:WORD_1 src1_sel:DWORD
	s_waitcnt lgkmcnt(2)
	v_lshrrev_b32_e32 v98, 16, v64
	v_add_u32_e32 v52, 0x400, v71
	v_fma_f16 v60, v2, v63, v60
	v_mul_f16_sdwa v63, v2, v63 dst_sel:DWORD dst_unused:UNUSED_PAD src0_sel:WORD_1 src1_sel:DWORD
	ds_read2_b32 v[86:87], v52 offset0:108 offset1:199
	v_fma_f16 v2, v2, v93, -v63
	v_mul_f16_sdwa v63, v3, v98 dst_sel:DWORD dst_unused:UNUSED_PAD src0_sel:WORD_1 src1_sel:DWORD
	s_waitcnt lgkmcnt(2)
	v_lshrrev_b32_e32 v99, 16, v67
	v_fma_f16 v63, v3, v64, v63
	v_mul_f16_sdwa v64, v3, v64 dst_sel:DWORD dst_unused:UNUSED_PAD src0_sel:WORD_1 src1_sel:DWORD
	v_add_u32_e32 v55, 0xc00, v71
	v_fma_f16 v3, v3, v98, -v64
	v_mul_f16_sdwa v64, v27, v99 dst_sel:DWORD dst_unused:UNUSED_PAD src0_sel:WORD_1 src1_sel:DWORD
	s_waitcnt lgkmcnt(1)
	v_lshrrev_b32_e32 v100, 16, v68
	ds_read2_b32 v[88:89], v55 offset0:142 offset1:233
	v_fma_f16 v64, v27, v67, v64
	v_mul_f16_sdwa v67, v27, v67 dst_sel:DWORD dst_unused:UNUSED_PAD src0_sel:WORD_1 src1_sel:DWORD
	v_fma_f16 v27, v27, v99, -v67
	v_mul_f16_sdwa v67, v28, v100 dst_sel:DWORD dst_unused:UNUSED_PAD src0_sel:WORD_1 src1_sel:DWORD
	v_add_u32_e32 v25, 0x1600, v71
	s_waitcnt lgkmcnt(1)
	v_lshrrev_b32_e32 v101, 16, v86
	v_fma_f16 v67, v28, v68, v67
	v_mul_f16_sdwa v68, v28, v68 dst_sel:DWORD dst_unused:UNUSED_PAD src0_sel:WORD_1 src1_sel:DWORD
	ds_read2_b32 v[90:91], v25 offset0:48 offset1:139
	v_lshrrev_b32_e32 v102, 16, v61
	v_fma_f16 v28, v28, v100, -v68
	v_mul_f16_sdwa v68, v4, v101 dst_sel:DWORD dst_unused:UNUSED_PAD src0_sel:WORD_1 src1_sel:DWORD
	v_mul_f16_sdwa v70, v4, v86 dst_sel:DWORD dst_unused:UNUSED_PAD src0_sel:WORD_1 src1_sel:DWORD
	v_fma_f16 v68, v4, v86, v68
	v_fma_f16 v4, v4, v101, -v70
	v_mul_f16_sdwa v70, v5, v102 dst_sel:DWORD dst_unused:UNUSED_PAD src0_sel:WORD_1 src1_sel:DWORD
	s_waitcnt lgkmcnt(1)
	v_lshrrev_b32_e32 v103, 16, v88
	v_fma_f16 v70, v5, v61, v70
	v_mul_f16_sdwa v61, v5, v61 dst_sel:DWORD dst_unused:UNUSED_PAD src0_sel:WORD_1 src1_sel:DWORD
	v_lshrrev_b32_e32 v104, 16, v65
	v_fma_f16 v5, v5, v102, -v61
	v_mul_f16_sdwa v61, v6, v103 dst_sel:DWORD dst_unused:UNUSED_PAD src0_sel:WORD_1 src1_sel:DWORD
	v_mul_f16_sdwa v86, v6, v88 dst_sel:DWORD dst_unused:UNUSED_PAD src0_sel:WORD_1 src1_sel:DWORD
	v_fma_f16 v61, v6, v88, v61
	v_fma_f16 v6, v6, v103, -v86
	v_mul_f16_sdwa v86, v7, v104 dst_sel:DWORD dst_unused:UNUSED_PAD src0_sel:WORD_1 src1_sel:DWORD
	s_waitcnt lgkmcnt(0)
	v_lshrrev_b32_e32 v105, 16, v90
	v_fma_f16 v86, v7, v65, v86
	v_mul_f16_sdwa v65, v7, v65 dst_sel:DWORD dst_unused:UNUSED_PAD src0_sel:WORD_1 src1_sel:DWORD
	v_lshrrev_b32_e32 v106, 16, v69
	v_fma_f16 v7, v7, v104, -v65
	v_mul_f16_sdwa v65, v29, v105 dst_sel:DWORD dst_unused:UNUSED_PAD src0_sel:WORD_1 src1_sel:DWORD
	v_mul_f16_sdwa v88, v29, v90 dst_sel:DWORD dst_unused:UNUSED_PAD src0_sel:WORD_1 src1_sel:DWORD
	v_fma_f16 v65, v29, v90, v65
	v_fma_f16 v29, v29, v105, -v88
	v_mul_f16_sdwa v88, v30, v106 dst_sel:DWORD dst_unused:UNUSED_PAD src0_sel:WORD_1 src1_sel:DWORD
	v_lshrrev_b32_e32 v107, 16, v87
	v_fma_f16 v88, v30, v69, v88
	v_mul_f16_sdwa v69, v30, v69 dst_sel:DWORD dst_unused:UNUSED_PAD src0_sel:WORD_1 src1_sel:DWORD
	v_fma_f16 v30, v30, v106, -v69
	v_mul_f16_sdwa v69, v8, v107 dst_sel:DWORD dst_unused:UNUSED_PAD src0_sel:WORD_1 src1_sel:DWORD
	v_lshrrev_b32_e32 v109, 16, v62
	v_fma_f16 v69, v8, v87, v69
	v_mul_f16_sdwa v87, v8, v87 dst_sel:DWORD dst_unused:UNUSED_PAD src0_sel:WORD_1 src1_sel:DWORD
	v_fma_f16 v8, v8, v107, -v87
	v_mul_f16_sdwa v87, v9, v109 dst_sel:DWORD dst_unused:UNUSED_PAD src0_sel:WORD_1 src1_sel:DWORD
	ds_read_b32 v108, v71 offset:7280
	v_lshrrev_b32_e32 v110, 16, v89
	v_fma_f16 v87, v9, v62, v87
	v_mul_f16_sdwa v62, v9, v62 dst_sel:DWORD dst_unused:UNUSED_PAD src0_sel:WORD_1 src1_sel:DWORD
	v_fma_f16 v9, v9, v109, -v62
	v_mul_f16_sdwa v62, v10, v110 dst_sel:DWORD dst_unused:UNUSED_PAD src0_sel:WORD_1 src1_sel:DWORD
	v_lshrrev_b32_e32 v111, 16, v66
	v_fma_f16 v62, v10, v89, v62
	v_mul_f16_sdwa v89, v10, v89 dst_sel:DWORD dst_unused:UNUSED_PAD src0_sel:WORD_1 src1_sel:DWORD
	v_fma_f16 v10, v10, v110, -v89
	v_mul_f16_sdwa v89, v11, v111 dst_sel:DWORD dst_unused:UNUSED_PAD src0_sel:WORD_1 src1_sel:DWORD
	v_lshrrev_b32_e32 v112, 16, v91
	v_fma_f16 v89, v11, v66, v89
	v_mul_f16_sdwa v66, v11, v66 dst_sel:DWORD dst_unused:UNUSED_PAD src0_sel:WORD_1 src1_sel:DWORD
	s_waitcnt lgkmcnt(0)
	v_lshrrev_b32_e32 v113, 16, v108
	v_fma_f16 v11, v11, v111, -v66
	v_mul_f16_sdwa v66, v31, v112 dst_sel:DWORD dst_unused:UNUSED_PAD src0_sel:WORD_1 src1_sel:DWORD
	v_mul_f16_sdwa v90, v31, v91 dst_sel:DWORD dst_unused:UNUSED_PAD src0_sel:WORD_1 src1_sel:DWORD
	v_fma_f16 v66, v31, v91, v66
	v_fma_f16 v31, v31, v112, -v90
	v_mul_f16_sdwa v90, v32, v113 dst_sel:DWORD dst_unused:UNUSED_PAD src0_sel:WORD_1 src1_sel:DWORD
	v_mul_f16_sdwa v91, v32, v108 dst_sel:DWORD dst_unused:UNUSED_PAD src0_sel:WORD_1 src1_sel:DWORD
	v_fma_f16 v90, v32, v108, v90
	v_fma_f16 v32, v32, v113, -v91
	v_add_f16_e32 v91, v114, v67
	v_add_f16_e32 v92, v0, v28
	v_sub_f16_e32 v0, v0, v28
	v_add_f16_e32 v28, v57, v64
	v_add_f16_e32 v93, v1, v27
	v_sub_f16_e32 v67, v114, v67
	v_sub_f16_e32 v57, v57, v64
	;; [unrolled: 1-line block ×3, first 2 shown]
	v_add_f16_e32 v27, v60, v63
	v_add_f16_e32 v64, v2, v3
	v_sub_f16_e32 v60, v63, v60
	v_sub_f16_e32 v2, v3, v2
	v_add_f16_e32 v3, v28, v91
	v_add_f16_e32 v63, v93, v92
	v_sub_f16_e32 v98, v28, v91
	v_sub_f16_e32 v99, v93, v92
	;; [unrolled: 1-line block ×6, first 2 shown]
	v_add_f16_e32 v100, v60, v57
	v_add_f16_e32 v101, v2, v1
	v_sub_f16_e32 v102, v60, v57
	v_sub_f16_e32 v103, v2, v1
	;; [unrolled: 1-line block ×4, first 2 shown]
	v_add_f16_e32 v3, v27, v3
	v_add_f16_e32 v27, v64, v63
	v_sub_f16_e32 v60, v67, v60
	v_sub_f16_e32 v2, v0, v2
	v_add_f16_e32 v63, v100, v67
	v_add_f16_e32 v0, v101, v0
	;; [unrolled: 1-line block ×3, first 2 shown]
	v_add_f16_sdwa v58, v58, v27 dst_sel:DWORD dst_unused:UNUSED_PAD src0_sel:WORD_1 src1_sel:DWORD
	v_mul_f16_e32 v67, 0x3a52, v91
	v_mul_f16_e32 v91, 0x3a52, v92
	s_movk_i32 s3, 0x2b26
	v_mul_f16_e32 v92, 0x2b26, v28
	v_mul_f16_e32 v100, 0x2b26, v93
	;; [unrolled: 1-line block ×4, first 2 shown]
	s_mov_b32 s2, 0xbb00
	v_mul_f16_e32 v103, 0xbb00, v57
	v_mul_f16_e32 v104, 0xbb00, v1
	s_mov_b32 s4, 0xbcab
	s_movk_i32 s5, 0x39e0
	s_mov_b32 s13, 0xb9e0
	s_mov_b32 s14, 0xb574
	s_movk_i32 s15, 0x3574
	v_fma_f16 v3, v3, s4, v64
	v_fma_f16 v27, v27, s4, v58
	;; [unrolled: 1-line block ×4, first 2 shown]
	v_fma_f16 v92, v98, s5, -v92
	v_fma_f16 v100, v99, s5, -v100
	;; [unrolled: 1-line block ×4, first 2 shown]
	v_fma_f16 v98, v60, s14, v101
	v_fma_f16 v99, v2, s14, v102
	v_fma_f16 v1, v1, s2, -v102
	v_fma_f16 v60, v60, s15, -v103
	;; [unrolled: 1-line block ×3, first 2 shown]
	s_mov_b32 s12, 0xb70e
	v_fma_f16 v57, v57, s2, -v101
	v_add_f16_e32 v28, v28, v3
	v_add_f16_e32 v93, v93, v27
	;; [unrolled: 1-line block ×6, first 2 shown]
	v_fma_f16 v67, v63, s12, v98
	v_fma_f16 v91, v0, s12, v99
	;; [unrolled: 1-line block ×6, first 2 shown]
	v_add_f16_e32 v2, v91, v28
	v_sub_f16_e32 v63, v93, v67
	v_add_f16_e32 v98, v0, v3
	v_sub_f16_e32 v99, v27, v60
	v_sub_f16_e32 v0, v3, v0
	v_add_f16_e32 v3, v60, v27
	v_sub_f16_e32 v27, v28, v91
	v_add_f16_e32 v28, v67, v93
	v_add_f16_e32 v60, v68, v88
	;; [unrolled: 1-line block ×3, first 2 shown]
	v_sub_f16_e32 v68, v68, v88
	v_sub_f16_e32 v4, v4, v30
	v_add_f16_e32 v30, v70, v65
	v_add_f16_e32 v88, v5, v29
	v_sub_f16_e32 v65, v70, v65
	v_sub_f16_e32 v5, v5, v29
	v_add_f16_e32 v29, v61, v86
	v_add_f16_e32 v70, v6, v7
	;; [unrolled: 4-line block ×3, first 2 shown]
	v_sub_f16_e32 v101, v92, v1
	v_add_f16_e32 v102, v57, v100
	v_add_f16_e32 v1, v1, v92
	v_sub_f16_e32 v57, v100, v57
	v_sub_f16_e32 v91, v30, v60
	;; [unrolled: 1-line block ×7, first 2 shown]
	v_add_f16_e32 v93, v61, v65
	v_add_f16_e32 v100, v6, v5
	v_sub_f16_e32 v103, v61, v65
	v_sub_f16_e32 v104, v6, v5
	;; [unrolled: 1-line block ×4, first 2 shown]
	v_add_f16_e32 v7, v29, v7
	v_add_f16_e32 v29, v70, v86
	v_sub_f16_e32 v61, v68, v61
	v_sub_f16_e32 v6, v4, v6
	v_add_f16_e32 v68, v93, v68
	v_add_f16_e32 v4, v100, v4
	;; [unrolled: 1-line block ×3, first 2 shown]
	v_add_f16_sdwa v59, v59, v29 dst_sel:DWORD dst_unused:UNUSED_PAD src0_sel:WORD_1 src1_sel:DWORD
	v_mul_f16_e32 v60, 0x3a52, v60
	v_mul_f16_e32 v67, 0x3a52, v67
	;; [unrolled: 1-line block ×8, first 2 shown]
	v_fma_f16 v7, v7, s4, v70
	v_fma_f16 v29, v29, s4, v59
	;; [unrolled: 1-line block ×4, first 2 shown]
	v_fma_f16 v86, v91, s5, -v86
	v_fma_f16 v93, v92, s5, -v93
	;; [unrolled: 1-line block ×4, first 2 shown]
	v_fma_f16 v91, v61, s14, v100
	v_fma_f16 v92, v6, s14, v103
	v_fma_f16 v5, v5, s2, -v103
	v_fma_f16 v61, v61, s15, -v104
	;; [unrolled: 1-line block ×4, first 2 shown]
	v_add_f16_e32 v30, v30, v7
	v_add_f16_e32 v88, v88, v29
	;; [unrolled: 1-line block ×6, first 2 shown]
	v_fma_f16 v60, v68, s12, v91
	v_fma_f16 v67, v4, s12, v92
	;; [unrolled: 1-line block ×6, first 2 shown]
	v_add_f16_e32 v6, v67, v30
	v_sub_f16_e32 v68, v88, v60
	v_add_f16_e32 v91, v4, v7
	v_sub_f16_e32 v92, v29, v61
	v_sub_f16_e32 v4, v7, v4
	v_add_f16_e32 v7, v61, v29
	v_sub_f16_e32 v29, v30, v67
	v_add_f16_e32 v30, v60, v88
	v_add_f16_e32 v60, v69, v90
	;; [unrolled: 1-line block ×3, first 2 shown]
	v_sub_f16_e32 v67, v69, v90
	v_sub_f16_e32 v8, v8, v32
	v_add_f16_e32 v32, v87, v66
	v_add_f16_e32 v69, v9, v31
	v_sub_f16_e32 v100, v86, v5
	v_add_f16_e32 v5, v5, v86
	v_sub_f16_e32 v66, v87, v66
	v_sub_f16_e32 v9, v9, v31
	v_add_f16_e32 v31, v62, v89
	v_add_f16_e32 v86, v10, v11
	v_sub_f16_e32 v62, v89, v62
	v_sub_f16_e32 v10, v11, v10
	v_add_f16_e32 v11, v32, v60
	v_add_f16_e32 v87, v69, v61
	v_pack_b32_f16 v1, v1, v57
	v_pack_b32_f16 v0, v0, v3
	v_add_f16_e32 v103, v65, v93
	v_sub_f16_e32 v65, v93, v65
	v_sub_f16_e32 v88, v32, v60
	;; [unrolled: 1-line block ×7, first 2 shown]
	v_add_f16_e32 v90, v62, v66
	v_add_f16_e32 v93, v10, v9
	v_sub_f16_e32 v104, v62, v66
	v_sub_f16_e32 v105, v10, v9
	v_add_f16_e32 v11, v31, v11
	v_add_f16_e32 v31, v86, v87
	s_barrier
	v_pack_b32_f16 v58, v64, v58
	v_pack_b32_f16 v2, v2, v63
	ds_write2_b32 v94, v1, v0 offset0:52 offset1:65
	v_pack_b32_f16 v0, v27, v28
	v_sub_f16_e32 v62, v67, v62
	v_sub_f16_e32 v10, v8, v10
	;; [unrolled: 1-line block ×4, first 2 shown]
	v_add_f16_e32 v67, v90, v67
	v_add_f16_e32 v8, v93, v8
	;; [unrolled: 1-line block ×3, first 2 shown]
	v_add_f16_sdwa v56, v56, v31 dst_sel:DWORD dst_unused:UNUSED_PAD src0_sel:WORD_1 src1_sel:DWORD
	v_mul_f16_e32 v60, 0x3a52, v60
	v_mul_f16_e32 v61, 0x3a52, v61
	;; [unrolled: 1-line block ×6, first 2 shown]
	ds_write2_b32 v94, v58, v2 offset1:13
	v_pack_b32_f16 v2, v98, v99
	v_pack_b32_f16 v58, v101, v102
	ds_write_b32 v94, v0 offset:312
	v_pack_b32_f16 v0, v70, v59
	v_pack_b32_f16 v1, v6, v68
	v_mul_f16_e32 v105, 0xbb00, v66
	v_mul_f16_e32 v106, 0xbb00, v9
	v_fma_f16 v11, v11, s4, v86
	v_fma_f16 v31, v31, s4, v56
	;; [unrolled: 1-line block ×4, first 2 shown]
	v_fma_f16 v87, v88, s5, -v87
	v_fma_f16 v90, v89, s5, -v90
	;; [unrolled: 1-line block ×4, first 2 shown]
	v_fma_f16 v88, v62, s14, v93
	v_fma_f16 v89, v10, s14, v104
	ds_write2_b32 v94, v2, v58 offset0:26 offset1:39
	ds_write2_b32 v95, v0, v1 offset1:13
	v_pack_b32_f16 v0, v91, v92
	v_pack_b32_f16 v1, v100, v103
	v_fma_f16 v66, v66, s2, -v93
	v_fma_f16 v9, v9, s2, -v104
	v_fma_f16 v62, v62, s15, -v105
	v_fma_f16 v10, v10, s15, -v106
	v_add_f16_e32 v32, v32, v11
	v_add_f16_e32 v69, v69, v31
	;; [unrolled: 1-line block ×6, first 2 shown]
	v_fma_f16 v60, v67, s12, v88
	v_fma_f16 v61, v8, s12, v89
	ds_write2_b32 v95, v0, v1 offset0:26 offset1:39
	v_pack_b32_f16 v0, v5, v65
	v_pack_b32_f16 v1, v4, v7
	v_fma_f16 v66, v67, s12, v66
	v_fma_f16 v9, v8, s12, v9
	;; [unrolled: 1-line block ×4, first 2 shown]
	v_add_f16_e32 v10, v61, v32
	v_sub_f16_e32 v67, v69, v60
	ds_write2_b32 v95, v0, v1 offset0:52 offset1:65
	v_pack_b32_f16 v0, v29, v30
	v_add_f16_e32 v88, v8, v11
	v_sub_f16_e32 v89, v31, v62
	v_sub_f16_e32 v93, v87, v9
	v_add_f16_e32 v104, v66, v90
	ds_write_b32 v95, v0 offset:312
	v_pack_b32_f16 v0, v86, v56
	v_pack_b32_f16 v1, v10, v67
	v_add_f16_e32 v9, v9, v87
	v_sub_f16_e32 v66, v90, v66
	v_sub_f16_e32 v8, v11, v8
	v_add_f16_e32 v11, v62, v31
	ds_write2_b32 v96, v0, v1 offset1:13
	v_pack_b32_f16 v0, v88, v89
	v_pack_b32_f16 v1, v93, v104
	v_sub_f16_e32 v31, v32, v61
	v_add_f16_e32 v32, v60, v69
	ds_write2_b32 v96, v0, v1 offset0:26 offset1:39
	v_pack_b32_f16 v0, v9, v66
	v_pack_b32_f16 v1, v8, v11
	ds_write2_b32 v96, v0, v1 offset0:52 offset1:65
	v_pack_b32_f16 v0, v31, v32
	ds_write_b32 v96, v0 offset:312
	s_waitcnt lgkmcnt(0)
	s_barrier
	ds_read2_b32 v[0:1], v53 offset0:54 offset1:145
	ds_read2_b32 v[2:3], v51 offset0:34 offset1:125
	ds_read2_b32 v[4:5], v71 offset1:91
	ds_read2_b32 v[6:7], v24 offset0:88 offset1:179
	ds_read2_b32 v[8:9], v54 offset0:68 offset1:159
	s_waitcnt lgkmcnt(4)
	v_lshrrev_b32_e32 v58, 16, v1
	v_mul_f16_sdwa v92, v12, v58 dst_sel:DWORD dst_unused:UNUSED_PAD src0_sel:WORD_1 src1_sel:DWORD
	s_waitcnt lgkmcnt(3)
	v_lshrrev_b32_e32 v59, 16, v2
	v_fma_f16 v92, v12, v1, v92
	v_mul_f16_sdwa v1, v12, v1 dst_sel:DWORD dst_unused:UNUSED_PAD src0_sel:WORD_1 src1_sel:DWORD
	ds_read2_b32 v[10:11], v26 offset0:122 offset1:213
	v_fma_f16 v1, v12, v58, -v1
	v_mul_f16_sdwa v58, v13, v59 dst_sel:DWORD dst_unused:UNUSED_PAD src0_sel:WORD_1 src1_sel:DWORD
	s_waitcnt lgkmcnt(2)
	v_lshrrev_b32_e32 v60, 16, v7
	v_fma_f16 v58, v13, v2, v58
	v_mul_f16_sdwa v2, v13, v2 dst_sel:DWORD dst_unused:UNUSED_PAD src0_sel:WORD_1 src1_sel:DWORD
	ds_read2_b32 v[27:28], v23 offset0:102 offset1:193
	v_fma_f16 v2, v13, v59, -v2
	;; [unrolled: 7-line block ×3, first 2 shown]
	v_mul_f16_sdwa v60, v15, v61 dst_sel:DWORD dst_unused:UNUSED_PAD src0_sel:WORD_1 src1_sel:DWORD
	s_waitcnt lgkmcnt(2)
	v_lshrrev_b32_e32 v62, 16, v11
	v_fma_f16 v60, v15, v8, v60
	v_mul_f16_sdwa v8, v15, v8 dst_sel:DWORD dst_unused:UNUSED_PAD src0_sel:WORD_1 src1_sel:DWORD
	v_fma_f16 v8, v15, v61, -v8
	v_mul_f16_sdwa v61, v33, v62 dst_sel:DWORD dst_unused:UNUSED_PAD src0_sel:WORD_1 src1_sel:DWORD
	s_waitcnt lgkmcnt(1)
	v_lshrrev_b32_e32 v63, 16, v27
	v_fma_f16 v61, v33, v11, v61
	v_mul_f16_sdwa v11, v33, v11 dst_sel:DWORD dst_unused:UNUSED_PAD src0_sel:WORD_1 src1_sel:DWORD
	ds_read2_b32 v[31:32], v55 offset0:142 offset1:233
	v_fma_f16 v11, v33, v62, -v11
	v_mul_f16_sdwa v62, v34, v63 dst_sel:DWORD dst_unused:UNUSED_PAD src0_sel:WORD_1 src1_sel:DWORD
	s_waitcnt lgkmcnt(1)
	v_lshrrev_b32_e32 v64, 16, v29
	v_fma_f16 v62, v34, v27, v62
	v_mul_f16_sdwa v27, v34, v27 dst_sel:DWORD dst_unused:UNUSED_PAD src0_sel:WORD_1 src1_sel:DWORD
	v_fma_f16 v27, v34, v63, -v27
	v_mul_f16_sdwa v63, v12, v64 dst_sel:DWORD dst_unused:UNUSED_PAD src0_sel:WORD_1 src1_sel:DWORD
	v_lshrrev_b32_e32 v65, 16, v3
	v_fma_f16 v63, v12, v29, v63
	v_mul_f16_sdwa v29, v12, v29 dst_sel:DWORD dst_unused:UNUSED_PAD src0_sel:WORD_1 src1_sel:DWORD
	ds_read2_b32 v[56:57], v25 offset0:48 offset1:139
	v_fma_f16 v12, v12, v64, -v29
	v_mul_f16_sdwa v29, v13, v65 dst_sel:DWORD dst_unused:UNUSED_PAD src0_sel:WORD_1 src1_sel:DWORD
	s_waitcnt lgkmcnt(1)
	v_lshrrev_b32_e32 v66, 16, v31
	v_fma_f16 v29, v13, v3, v29
	v_mul_f16_sdwa v3, v13, v3 dst_sel:DWORD dst_unused:UNUSED_PAD src0_sel:WORD_1 src1_sel:DWORD
	v_fma_f16 v3, v13, v65, -v3
	v_mul_f16_sdwa v13, v14, v66 dst_sel:DWORD dst_unused:UNUSED_PAD src0_sel:WORD_1 src1_sel:DWORD
	v_lshrrev_b32_e32 v67, 16, v9
	v_fma_f16 v13, v14, v31, v13
	v_mul_f16_sdwa v31, v14, v31 dst_sel:DWORD dst_unused:UNUSED_PAD src0_sel:WORD_1 src1_sel:DWORD
	v_fma_f16 v14, v14, v66, -v31
	v_mul_f16_sdwa v31, v15, v67 dst_sel:DWORD dst_unused:UNUSED_PAD src0_sel:WORD_1 src1_sel:DWORD
	s_waitcnt lgkmcnt(0)
	v_lshrrev_b32_e32 v68, 16, v56
	v_fma_f16 v31, v15, v9, v31
	v_mul_f16_sdwa v9, v15, v9 dst_sel:DWORD dst_unused:UNUSED_PAD src0_sel:WORD_1 src1_sel:DWORD
	v_fma_f16 v9, v15, v67, -v9
	v_mul_f16_sdwa v15, v33, v68 dst_sel:DWORD dst_unused:UNUSED_PAD src0_sel:WORD_1 src1_sel:DWORD
	v_lshrrev_b32_e32 v69, 16, v28
	v_fma_f16 v15, v33, v56, v15
	v_mul_f16_sdwa v56, v33, v56 dst_sel:DWORD dst_unused:UNUSED_PAD src0_sel:WORD_1 src1_sel:DWORD
	v_fma_f16 v33, v33, v68, -v56
	v_mul_f16_sdwa v56, v34, v69 dst_sel:DWORD dst_unused:UNUSED_PAD src0_sel:WORD_1 src1_sel:DWORD
	;; [unrolled: 5-line block ×4, first 2 shown]
	v_lshrrev_b32_e32 v88, 16, v32
	v_fma_f16 v30, v17, v6, v30
	v_mul_f16_sdwa v6, v17, v6 dst_sel:DWORD dst_unused:UNUSED_PAD src0_sel:WORD_1 src1_sel:DWORD
	ds_read_b32 v86, v71 offset:7280
	v_fma_f16 v6, v17, v87, -v6
	v_mul_f16_sdwa v17, v18, v88 dst_sel:DWORD dst_unused:UNUSED_PAD src0_sel:WORD_1 src1_sel:DWORD
	v_lshrrev_b32_e32 v89, 16, v10
	v_fma_f16 v17, v18, v32, v17
	v_mul_f16_sdwa v32, v18, v32 dst_sel:DWORD dst_unused:UNUSED_PAD src0_sel:WORD_1 src1_sel:DWORD
	v_fma_f16 v18, v18, v88, -v32
	v_mul_f16_sdwa v32, v19, v89 dst_sel:DWORD dst_unused:UNUSED_PAD src0_sel:WORD_1 src1_sel:DWORD
	v_lshrrev_b32_e32 v90, 16, v57
	v_fma_f16 v32, v19, v10, v32
	v_mul_f16_sdwa v10, v19, v10 dst_sel:DWORD dst_unused:UNUSED_PAD src0_sel:WORD_1 src1_sel:DWORD
	v_fma_f16 v10, v19, v89, -v10
	v_mul_f16_sdwa v19, v35, v90 dst_sel:DWORD dst_unused:UNUSED_PAD src0_sel:WORD_1 src1_sel:DWORD
	s_waitcnt lgkmcnt(0)
	v_lshrrev_b32_e32 v91, 16, v86
	v_fma_f16 v19, v35, v57, v19
	v_mul_f16_sdwa v57, v35, v57 dst_sel:DWORD dst_unused:UNUSED_PAD src0_sel:WORD_1 src1_sel:DWORD
	v_fma_f16 v35, v35, v90, -v57
	v_mul_f16_sdwa v57, v36, v91 dst_sel:DWORD dst_unused:UNUSED_PAD src0_sel:WORD_1 src1_sel:DWORD
	v_mul_f16_sdwa v64, v36, v86 dst_sel:DWORD dst_unused:UNUSED_PAD src0_sel:WORD_1 src1_sel:DWORD
	v_fma_f16 v57, v36, v86, v57
	v_fma_f16 v36, v36, v91, -v64
	v_add_f16_e32 v64, v92, v62
	v_add_f16_e32 v65, v1, v27
	v_sub_f16_e32 v1, v1, v27
	v_add_f16_e32 v27, v58, v61
	v_add_f16_e32 v66, v2, v11
	v_sub_f16_e32 v62, v92, v62
	v_sub_f16_e32 v58, v58, v61
	;; [unrolled: 1-line block ×3, first 2 shown]
	v_add_f16_e32 v11, v59, v60
	v_add_f16_e32 v61, v7, v8
	v_sub_f16_e32 v59, v60, v59
	v_sub_f16_e32 v7, v8, v7
	v_add_f16_e32 v8, v27, v64
	v_add_f16_e32 v60, v66, v65
	v_sub_f16_e32 v67, v27, v64
	v_sub_f16_e32 v68, v66, v65
	;; [unrolled: 1-line block ×6, first 2 shown]
	v_add_f16_e32 v69, v59, v58
	v_add_f16_e32 v70, v7, v2
	v_sub_f16_e32 v86, v59, v58
	v_sub_f16_e32 v87, v7, v2
	;; [unrolled: 1-line block ×4, first 2 shown]
	v_add_f16_e32 v8, v11, v8
	v_add_f16_e32 v11, v61, v60
	v_sub_f16_e32 v59, v62, v59
	v_sub_f16_e32 v7, v1, v7
	v_add_f16_e32 v60, v69, v62
	v_add_f16_e32 v1, v70, v1
	;; [unrolled: 1-line block ×3, first 2 shown]
	v_add_f16_sdwa v4, v4, v11 dst_sel:DWORD dst_unused:UNUSED_PAD src0_sel:WORD_1 src1_sel:DWORD
	v_mul_f16_e32 v62, 0x3a52, v64
	v_mul_f16_e32 v64, 0x3a52, v65
	;; [unrolled: 1-line block ×8, first 2 shown]
	v_fma_f16 v8, v8, s4, v61
	v_fma_f16 v11, v11, s4, v4
	v_fma_f16 v27, v27, s3, v62
	v_fma_f16 v66, v66, s3, v64
	v_fma_f16 v65, v67, s5, -v65
	v_fma_f16 v69, v68, s5, -v69
	;; [unrolled: 1-line block ×4, first 2 shown]
	v_fma_f16 v67, v59, s14, v70
	v_fma_f16 v68, v7, s14, v86
	v_fma_f16 v2, v2, s2, -v86
	v_fma_f16 v59, v59, s15, -v87
	;; [unrolled: 1-line block ×4, first 2 shown]
	v_add_f16_e32 v27, v27, v8
	v_add_f16_e32 v66, v66, v11
	;; [unrolled: 1-line block ×6, first 2 shown]
	v_fma_f16 v62, v60, s12, v67
	v_fma_f16 v64, v1, s12, v68
	;; [unrolled: 1-line block ×6, first 2 shown]
	v_add_f16_e32 v7, v64, v27
	v_sub_f16_e32 v60, v66, v62
	v_add_f16_e32 v67, v1, v8
	v_sub_f16_e32 v68, v11, v59
	v_sub_f16_e32 v1, v8, v1
	v_add_f16_e32 v8, v59, v11
	v_sub_f16_e32 v11, v27, v64
	v_add_f16_e32 v27, v62, v66
	v_add_f16_e32 v59, v63, v56
	;; [unrolled: 1-line block ×3, first 2 shown]
	v_sub_f16_e32 v56, v63, v56
	v_sub_f16_e32 v12, v12, v28
	v_add_f16_e32 v28, v29, v15
	v_add_f16_e32 v63, v3, v33
	v_sub_f16_e32 v15, v29, v15
	v_sub_f16_e32 v3, v3, v33
	v_add_f16_e32 v29, v13, v31
	v_add_f16_e32 v33, v14, v9
	;; [unrolled: 4-line block ×3, first 2 shown]
	v_sub_f16_e32 v70, v65, v2
	v_add_f16_e32 v86, v58, v69
	v_add_f16_e32 v2, v2, v65
	v_sub_f16_e32 v58, v69, v58
	v_sub_f16_e32 v64, v28, v59
	v_sub_f16_e32 v65, v63, v62
	v_sub_f16_e32 v59, v59, v29
	v_sub_f16_e32 v62, v62, v33
	v_sub_f16_e32 v28, v29, v28
	v_sub_f16_e32 v63, v33, v63
	v_add_f16_e32 v66, v13, v15
	v_add_f16_e32 v69, v9, v3
	v_sub_f16_e32 v87, v13, v15
	v_sub_f16_e32 v88, v9, v3
	;; [unrolled: 1-line block ×4, first 2 shown]
	v_add_f16_e32 v14, v29, v14
	v_add_f16_e32 v29, v33, v31
	v_sub_f16_e32 v13, v56, v13
	v_sub_f16_e32 v9, v12, v9
	v_add_f16_e32 v31, v66, v56
	v_add_f16_e32 v12, v69, v12
	;; [unrolled: 1-line block ×3, first 2 shown]
	v_add_f16_sdwa v5, v5, v29 dst_sel:DWORD dst_unused:UNUSED_PAD src0_sel:WORD_1 src1_sel:DWORD
	v_mul_f16_e32 v56, 0x3a52, v59
	v_mul_f16_e32 v59, 0x3a52, v62
	;; [unrolled: 1-line block ×8, first 2 shown]
	v_fma_f16 v14, v14, s4, v33
	v_fma_f16 v29, v29, s4, v5
	v_fma_f16 v28, v28, s3, v56
	v_fma_f16 v63, v63, s3, v59
	v_fma_f16 v62, v64, s5, -v62
	v_fma_f16 v66, v65, s5, -v66
	;; [unrolled: 1-line block ×4, first 2 shown]
	v_fma_f16 v64, v13, s14, v69
	v_fma_f16 v65, v9, s14, v87
	v_fma_f16 v13, v13, s15, -v88
	v_fma_f16 v9, v9, s15, -v89
	;; [unrolled: 1-line block ×4, first 2 shown]
	v_add_f16_e32 v28, v28, v14
	v_add_f16_e32 v63, v63, v29
	;; [unrolled: 1-line block ×6, first 2 shown]
	v_fma_f16 v56, v31, s12, v64
	v_fma_f16 v59, v12, s12, v65
	;; [unrolled: 1-line block ×6, first 2 shown]
	v_add_f16_e32 v12, v59, v28
	v_sub_f16_e32 v31, v63, v56
	v_add_f16_e32 v64, v9, v14
	v_sub_f16_e32 v65, v29, v13
	v_sub_f16_e32 v9, v14, v9
	v_add_f16_e32 v13, v13, v29
	v_sub_f16_e32 v14, v28, v59
	v_add_f16_e32 v28, v56, v63
	v_add_f16_e32 v29, v34, v57
	v_add_f16_e32 v56, v16, v36
	v_sub_f16_e32 v34, v34, v57
	v_sub_f16_e32 v16, v16, v36
	v_add_f16_e32 v36, v30, v19
	v_add_f16_e32 v57, v6, v35
	v_sub_f16_e32 v19, v30, v19
	v_sub_f16_e32 v6, v6, v35
	v_add_f16_e32 v30, v17, v32
	v_add_f16_e32 v35, v18, v10
	;; [unrolled: 4-line block ×3, first 2 shown]
	v_sub_f16_e32 v69, v62, v3
	v_add_f16_e32 v87, v15, v66
	v_add_f16_e32 v3, v3, v62
	v_sub_f16_e32 v15, v66, v15
	v_sub_f16_e32 v59, v36, v29
	v_sub_f16_e32 v62, v57, v56
	v_sub_f16_e32 v29, v29, v30
	v_sub_f16_e32 v56, v56, v35
	v_sub_f16_e32 v36, v30, v36
	v_sub_f16_e32 v57, v35, v57
	v_add_f16_e32 v63, v17, v19
	v_add_f16_e32 v66, v10, v6
	v_sub_f16_e32 v88, v17, v19
	v_sub_f16_e32 v89, v10, v6
	v_add_f16_e32 v18, v30, v18
	v_add_f16_e32 v30, v35, v32
	v_pack_b32_f16 v4, v61, v4
	v_pack_b32_f16 v7, v7, v60
	;; [unrolled: 1-line block ×4, first 2 shown]
	v_sub_f16_e32 v17, v34, v17
	v_sub_f16_e32 v10, v16, v10
	v_sub_f16_e32 v19, v19, v34
	v_sub_f16_e32 v6, v6, v16
	v_add_f16_e32 v32, v63, v34
	v_add_f16_e32 v16, v66, v16
	v_add_f16_e32 v34, v0, v18
	v_add_f16_sdwa v0, v0, v30 dst_sel:DWORD dst_unused:UNUSED_PAD src0_sel:WORD_1 src1_sel:DWORD
	v_mul_f16_e32 v29, 0x3a52, v29
	v_mul_f16_e32 v35, 0x3a52, v56
	;; [unrolled: 1-line block ×6, first 2 shown]
	s_barrier
	ds_write2_b32 v71, v4, v7 offset1:91
	ds_write2_b32 v52, v2, v1 offset0:108 offset1:199
	v_pack_b32_f16 v1, v11, v27
	v_pack_b32_f16 v2, v33, v5
	v_mul_f16_e32 v89, 0xbb00, v19
	v_mul_f16_e32 v90, 0xbb00, v6
	v_fma_f16 v18, v18, s4, v34
	v_fma_f16 v30, v30, s4, v0
	;; [unrolled: 1-line block ×4, first 2 shown]
	v_fma_f16 v56, v59, s5, -v56
	v_fma_f16 v63, v62, s5, -v63
	;; [unrolled: 1-line block ×4, first 2 shown]
	v_fma_f16 v59, v17, s14, v66
	v_fma_f16 v62, v10, s14, v88
	ds_write2_b32 v51, v1, v2 offset0:34 offset1:125
	v_pack_b32_f16 v1, v12, v31
	v_pack_b32_f16 v2, v64, v65
	v_fma_f16 v19, v19, s2, -v66
	v_fma_f16 v6, v6, s2, -v88
	;; [unrolled: 1-line block ×4, first 2 shown]
	v_add_f16_e32 v36, v36, v18
	v_add_f16_e32 v57, v57, v30
	;; [unrolled: 1-line block ×6, first 2 shown]
	v_fma_f16 v30, v32, s12, v59
	v_fma_f16 v35, v16, s12, v62
	ds_write2_b32 v24, v1, v2 offset0:88 offset1:179
	v_pack_b32_f16 v1, v69, v87
	v_pack_b32_f16 v2, v3, v15
	v_fma_f16 v19, v32, s12, v19
	v_fma_f16 v6, v16, s12, v6
	;; [unrolled: 1-line block ×4, first 2 shown]
	v_add_f16_e32 v16, v35, v36
	v_sub_f16_e32 v32, v57, v30
	ds_write2_b32 v55, v1, v2 offset0:142 offset1:233
	v_pack_b32_f16 v1, v9, v13
	v_pack_b32_f16 v2, v14, v28
	v_add_f16_e32 v59, v10, v18
	v_sub_f16_e32 v62, v29, v17
	v_sub_f16_e32 v66, v56, v6
	v_add_f16_e32 v88, v19, v63
	v_pack_b32_f16 v4, v67, v68
	v_pack_b32_f16 v7, v70, v86
	ds_write2_b32 v54, v1, v2 offset0:68 offset1:159
	v_pack_b32_f16 v0, v34, v0
	v_pack_b32_f16 v1, v16, v32
	v_add_u32_e32 v2, 0x1200, v97
	v_add_f16_e32 v6, v6, v56
	v_sub_f16_e32 v19, v63, v19
	v_sub_f16_e32 v10, v18, v10
	v_add_f16_e32 v17, v17, v29
	ds_write2_b32 v53, v4, v7 offset0:54 offset1:145
	ds_write2_b32 v2, v0, v1 offset0:122 offset1:213
	v_pack_b32_f16 v0, v59, v62
	v_pack_b32_f16 v1, v66, v88
	v_add_u32_e32 v2, 0x1600, v97
	v_sub_f16_e32 v18, v36, v35
	v_add_f16_e32 v29, v30, v57
	ds_write2_b32 v2, v0, v1 offset0:48 offset1:139
	v_pack_b32_f16 v0, v6, v19
	v_pack_b32_f16 v1, v10, v17
	v_add_u32_e32 v2, 0x1800, v97
	ds_write2_b32 v2, v0, v1 offset0:102 offset1:193
	v_pack_b32_f16 v0, v18, v29
	ds_write_b32 v97, v0 offset:7280
	s_waitcnt lgkmcnt(0)
	s_barrier
	ds_read2_b32 v[0:1], v71 offset1:91
	ds_read2_b32 v[2:3], v51 offset0:34 offset1:125
	ds_read2_b32 v[4:5], v26 offset0:122 offset1:213
	;; [unrolled: 1-line block ×5, first 2 shown]
	s_waitcnt lgkmcnt(4)
	v_lshrrev_b32_e32 v28, 16, v3
	v_mul_f16_sdwa v68, v37, v28 dst_sel:DWORD dst_unused:UNUSED_PAD src0_sel:WORD_1 src1_sel:DWORD
	s_waitcnt lgkmcnt(3)
	v_lshrrev_b32_e32 v29, 16, v4
	v_fma_f16 v68, v37, v3, v68
	v_mul_f16_sdwa v3, v37, v3 dst_sel:DWORD dst_unused:UNUSED_PAD src0_sel:WORD_1 src1_sel:DWORD
	ds_read2_b32 v[18:19], v54 offset0:68 offset1:159
	v_fma_f16 v3, v37, v28, -v3
	v_mul_f16_sdwa v28, v38, v29 dst_sel:DWORD dst_unused:UNUSED_PAD src0_sel:WORD_1 src1_sel:DWORD
	s_waitcnt lgkmcnt(3)
	v_lshrrev_b32_e32 v31, 16, v6
	v_fma_f16 v28, v38, v4, v28
	v_mul_f16_sdwa v4, v38, v4 dst_sel:DWORD dst_unused:UNUSED_PAD src0_sel:WORD_1 src1_sel:DWORD
	v_fma_f16 v4, v38, v29, -v4
	v_mul_f16_sdwa v29, v39, v31 dst_sel:DWORD dst_unused:UNUSED_PAD src0_sel:WORD_1 src1_sel:DWORD
	v_lshrrev_b32_e32 v32, 16, v5
	s_waitcnt lgkmcnt(2)
	v_lshrrev_b32_e32 v60, 16, v16
	v_fma_f16 v29, v39, v6, v29
	v_mul_f16_sdwa v6, v39, v6 dst_sel:DWORD dst_unused:UNUSED_PAD src0_sel:WORD_1 src1_sel:DWORD
	s_waitcnt lgkmcnt(1)
	v_lshrrev_b32_e32 v59, 16, v13
	v_fma_f16 v6, v39, v31, -v6
	v_mul_f16_sdwa v31, v40, v32 dst_sel:DWORD dst_unused:UNUSED_PAD src0_sel:WORD_1 src1_sel:DWORD
	v_mul_f16_sdwa v39, v46, v60 dst_sel:DWORD dst_unused:UNUSED_PAD src0_sel:WORD_1 src1_sel:DWORD
	ds_read2_b32 v[10:11], v25 offset0:48 offset1:139
	s_waitcnt lgkmcnt(1)
	v_lshrrev_b32_e32 v63, 16, v18
	v_fma_f16 v31, v40, v5, v31
	v_mul_f16_sdwa v5, v40, v5 dst_sel:DWORD dst_unused:UNUSED_PAD src0_sel:WORD_1 src1_sel:DWORD
	v_mul_f16_sdwa v38, v45, v59 dst_sel:DWORD dst_unused:UNUSED_PAD src0_sel:WORD_1 src1_sel:DWORD
	v_fma_f16 v39, v46, v16, v39
	v_mul_f16_sdwa v16, v46, v16 dst_sel:DWORD dst_unused:UNUSED_PAD src0_sel:WORD_1 src1_sel:DWORD
	v_lshrrev_b32_e32 v34, 16, v7
	v_fma_f16 v5, v40, v32, -v5
	v_fma_f16 v38, v45, v13, v38
	v_mul_f16_sdwa v13, v45, v13 dst_sel:DWORD dst_unused:UNUSED_PAD src0_sel:WORD_1 src1_sel:DWORD
	v_fma_f16 v16, v46, v60, -v16
	v_mul_f16_sdwa v40, v47, v63 dst_sel:DWORD dst_unused:UNUSED_PAD src0_sel:WORD_1 src1_sel:DWORD
	v_add_f16_e32 v46, v68, v28
	v_lshrrev_b32_e32 v27, 16, v0
	v_mul_f16_sdwa v32, v41, v34 dst_sel:DWORD dst_unused:UNUSED_PAD src0_sel:WORD_1 src1_sel:DWORD
	v_fma_f16 v13, v45, v59, -v13
	v_fma_f16 v40, v47, v18, v40
	v_mul_f16_sdwa v18, v47, v18 dst_sel:DWORD dst_unused:UNUSED_PAD src0_sel:WORD_1 src1_sel:DWORD
	v_add_f16_e32 v45, v0, v68
	v_fma_f16 v0, v46, -0.5, v0
	v_sub_f16_e32 v46, v3, v4
	s_mov_b32 s2, 0xbaee
	s_movk_i32 s3, 0x3aee
	v_lshrrev_b32_e32 v64, 16, v17
	v_fma_f16 v32, v41, v7, v32
	v_mul_f16_sdwa v7, v41, v7 dst_sel:DWORD dst_unused:UNUSED_PAD src0_sel:WORD_1 src1_sel:DWORD
	v_fma_f16 v18, v47, v63, -v18
	v_fma_f16 v47, v46, s2, v0
	v_fma_f16 v0, v46, s3, v0
	v_add_f16_e32 v46, v27, v3
	v_add_f16_e32 v3, v3, v4
	ds_read2_b32 v[8:9], v53 offset0:54 offset1:145
	v_fma_f16 v7, v41, v34, -v7
	v_mul_f16_sdwa v41, v48, v64 dst_sel:DWORD dst_unused:UNUSED_PAD src0_sel:WORD_1 src1_sel:DWORD
	v_add_f16_e32 v45, v45, v28
	v_add_f16_e32 v46, v46, v4
	v_fma_f16 v3, v3, -0.5, v27
	v_sub_f16_e32 v4, v68, v28
	v_add_f16_e32 v28, v29, v31
	v_lshrrev_b32_e32 v30, 16, v1
	s_waitcnt lgkmcnt(1)
	v_lshrrev_b32_e32 v35, 16, v10
	v_fma_f16 v41, v48, v17, v41
	v_mul_f16_sdwa v17, v48, v17 dst_sel:DWORD dst_unused:UNUSED_PAD src0_sel:WORD_1 src1_sel:DWORD
	v_fma_f16 v27, v4, s3, v3
	v_fma_f16 v3, v4, s2, v3
	v_add_f16_e32 v4, v1, v29
	v_fma_f16 v1, v28, -0.5, v1
	v_sub_f16_e32 v28, v6, v5
	v_mul_f16_sdwa v34, v42, v35 dst_sel:DWORD dst_unused:UNUSED_PAD src0_sel:WORD_1 src1_sel:DWORD
	v_fma_f16 v17, v48, v64, -v17
	v_fma_f16 v48, v28, s2, v1
	v_fma_f16 v1, v28, s3, v1
	v_add_f16_e32 v28, v30, v6
	v_fma_f16 v34, v42, v10, v34
	v_mul_f16_sdwa v10, v42, v10 dst_sel:DWORD dst_unused:UNUSED_PAD src0_sel:WORD_1 src1_sel:DWORD
	v_add_f16_e32 v28, v28, v5
	v_add_f16_e32 v5, v6, v5
	v_lshrrev_b32_e32 v56, 16, v12
	v_lshrrev_b32_e32 v57, 16, v11
	v_fma_f16 v10, v42, v35, -v10
	v_fma_f16 v5, v5, -0.5, v30
	v_sub_f16_e32 v6, v29, v31
	v_add_f16_e32 v30, v32, v34
	s_waitcnt lgkmcnt(0)
	v_lshrrev_b32_e32 v33, 16, v8
	v_mul_f16_sdwa v35, v43, v56 dst_sel:DWORD dst_unused:UNUSED_PAD src0_sel:WORD_1 src1_sel:DWORD
	v_mul_f16_sdwa v37, v44, v57 dst_sel:DWORD dst_unused:UNUSED_PAD src0_sel:WORD_1 src1_sel:DWORD
	v_fma_f16 v29, v6, s3, v5
	v_fma_f16 v5, v6, s2, v5
	v_add_f16_e32 v6, v8, v32
	v_fma_f16 v8, v30, -0.5, v8
	v_sub_f16_e32 v30, v7, v10
	v_fma_f16 v35, v43, v12, v35
	v_mul_f16_sdwa v12, v43, v12 dst_sel:DWORD dst_unused:UNUSED_PAD src0_sel:WORD_1 src1_sel:DWORD
	v_fma_f16 v37, v44, v11, v37
	v_mul_f16_sdwa v11, v44, v11 dst_sel:DWORD dst_unused:UNUSED_PAD src0_sel:WORD_1 src1_sel:DWORD
	v_add_f16_e32 v4, v4, v31
	v_fma_f16 v31, v30, s2, v8
	v_fma_f16 v8, v30, s3, v8
	v_add_f16_e32 v30, v33, v7
	v_add_f16_e32 v7, v7, v10
	ds_read2_b32 v[14:15], v52 offset0:108 offset1:199
	v_fma_f16 v12, v43, v56, -v12
	v_fma_f16 v11, v44, v57, -v11
	v_add_f16_e32 v30, v30, v10
	v_fma_f16 v7, v7, -0.5, v33
	v_sub_f16_e32 v10, v32, v34
	v_add_f16_e32 v33, v35, v37
	v_lshrrev_b32_e32 v36, 16, v9
	v_fma_f16 v32, v10, s3, v7
	v_fma_f16 v7, v10, s2, v7
	v_add_f16_e32 v10, v9, v35
	v_fma_f16 v9, v33, -0.5, v9
	v_sub_f16_e32 v33, v12, v11
	v_add_f16_e32 v6, v6, v34
	v_fma_f16 v34, v33, s2, v9
	v_fma_f16 v9, v33, s3, v9
	v_add_f16_e32 v33, v36, v12
	ds_read_b32 v62, v71 offset:7280
	v_add_f16_e32 v33, v33, v11
	v_add_f16_e32 v11, v12, v11
	v_fma_f16 v11, v11, -0.5, v36
	v_sub_f16_e32 v12, v35, v37
	v_add_f16_e32 v36, v38, v39
	s_waitcnt lgkmcnt(1)
	v_lshrrev_b32_e32 v58, 16, v14
	v_fma_f16 v35, v12, s3, v11
	v_fma_f16 v11, v12, s2, v11
	v_add_f16_e32 v12, v14, v38
	v_fma_f16 v14, v36, -0.5, v14
	v_sub_f16_e32 v36, v13, v16
	v_lshrrev_b32_e32 v66, 16, v19
	v_add_f16_e32 v10, v10, v37
	v_fma_f16 v37, v36, s2, v14
	v_fma_f16 v14, v36, s3, v14
	v_add_f16_e32 v36, v58, v13
	v_add_f16_e32 v13, v13, v16
	v_mul_f16_sdwa v42, v49, v66 dst_sel:DWORD dst_unused:UNUSED_PAD src0_sel:WORD_1 src1_sel:DWORD
	v_add_f16_e32 v12, v12, v39
	v_add_f16_e32 v36, v36, v16
	v_fma_f16 v13, v13, -0.5, v58
	v_sub_f16_e32 v16, v38, v39
	v_add_f16_e32 v39, v40, v41
	v_lshrrev_b32_e32 v61, 16, v15
	s_waitcnt lgkmcnt(0)
	v_lshrrev_b32_e32 v67, 16, v62
	v_fma_f16 v42, v49, v19, v42
	v_mul_f16_sdwa v19, v49, v19 dst_sel:DWORD dst_unused:UNUSED_PAD src0_sel:WORD_1 src1_sel:DWORD
	v_fma_f16 v38, v16, s3, v13
	v_fma_f16 v13, v16, s2, v13
	v_add_f16_e32 v16, v15, v40
	v_fma_f16 v15, v39, -0.5, v15
	v_sub_f16_e32 v39, v18, v17
	v_fma_f16 v19, v49, v66, -v19
	v_mul_f16_sdwa v43, v50, v67 dst_sel:DWORD dst_unused:UNUSED_PAD src0_sel:WORD_1 src1_sel:DWORD
	v_fma_f16 v49, v39, s2, v15
	v_fma_f16 v15, v39, s3, v15
	v_add_f16_e32 v39, v61, v18
	v_fma_f16 v43, v50, v62, v43
	v_mul_f16_sdwa v44, v50, v62 dst_sel:DWORD dst_unused:UNUSED_PAD src0_sel:WORD_1 src1_sel:DWORD
	v_add_f16_e32 v39, v39, v17
	v_add_f16_e32 v17, v18, v17
	v_fma_f16 v44, v50, v67, -v44
	v_add_f16_e32 v16, v16, v41
	v_fma_f16 v17, v17, -0.5, v61
	v_sub_f16_e32 v18, v40, v41
	v_add_f16_e32 v41, v42, v43
	v_lshrrev_b32_e32 v65, 16, v2
	v_fma_f16 v40, v18, s3, v17
	v_fma_f16 v17, v18, s2, v17
	v_add_f16_e32 v18, v2, v42
	v_fma_f16 v2, v41, -0.5, v2
	v_sub_f16_e32 v41, v19, v44
	v_fma_f16 v50, v41, s2, v2
	v_fma_f16 v2, v41, s3, v2
	v_add_f16_e32 v41, v65, v19
	v_add_f16_e32 v19, v19, v44
	v_fma_f16 v19, v19, -0.5, v65
	v_sub_f16_e32 v42, v42, v43
	v_pack_b32_f16 v0, v0, v3
	v_add_f16_e32 v18, v18, v43
	v_fma_f16 v43, v42, s3, v19
	v_fma_f16 v19, v42, s2, v19
	v_pack_b32_f16 v42, v45, v46
	v_pack_b32_f16 v27, v47, v27
	ds_write_b32 v71, v0 offset:5096
	v_pack_b32_f16 v0, v4, v28
	ds_write_b32 v71, v27 offset:2548
	ds_write2_b32 v71, v42, v0 offset1:91
	v_pack_b32_f16 v0, v48, v29
	v_pack_b32_f16 v4, v31, v32
	;; [unrolled: 1-line block ×3, first 2 shown]
	ds_write2_b32 v24, v0, v4 offset0:88 offset1:179
	v_pack_b32_f16 v0, v8, v7
	v_add_u32_e32 v4, 0x1400, v71
	v_pack_b32_f16 v3, v6, v30
	ds_write2_b32 v4, v1, v0 offset0:85 offset1:176
	v_pack_b32_f16 v0, v10, v33
	ds_write2_b32 v53, v3, v0 offset0:54 offset1:145
	v_pack_b32_f16 v0, v34, v35
	v_pack_b32_f16 v4, v37, v38
	;; [unrolled: 1-line block ×3, first 2 shown]
	ds_write2_b32 v55, v0, v4 offset0:142 offset1:233
	v_pack_b32_f16 v0, v14, v13
	v_add_f16_e32 v41, v41, v44
	v_pack_b32_f16 v3, v12, v36
	ds_write2_b32 v23, v1, v0 offset0:11 offset1:102
	v_pack_b32_f16 v0, v16, v39
	ds_write2_b32 v52, v3, v0 offset0:108 offset1:199
	v_pack_b32_f16 v3, v18, v41
	v_pack_b32_f16 v0, v49, v40
	ds_write_b32 v71, v3 offset:2184
	v_pack_b32_f16 v3, v50, v43
	v_pack_b32_f16 v1, v15, v17
	ds_write2_b32 v54, v0, v3 offset0:68 offset1:159
	v_pack_b32_f16 v0, v2, v19
	v_add_u32_e32 v2, 0x1a00, v71
	ds_write2_b32 v2, v1, v0 offset0:65 offset1:156
	s_waitcnt lgkmcnt(0)
	s_barrier
	ds_read2_b32 v[0:1], v71 offset1:147
	s_mov_b32 s12, 0xa36ec936
	s_mov_b32 s13, 0x3f4125a4
	v_mad_u64_u32 v[3:4], s[2:3], s10, v22, 0
	s_waitcnt lgkmcnt(0)
	v_lshrrev_b32_e32 v9, 16, v0
	v_mul_f16_sdwa v2, v85, v9 dst_sel:DWORD dst_unused:UNUSED_PAD src0_sel:WORD_1 src1_sel:DWORD
	v_fma_f16 v2, v85, v0, v2
	v_cvt_f32_f16_e32 v2, v2
	s_movk_i32 s15, 0x1ff
	s_movk_i32 s10, 0xffe
	v_mul_f16_sdwa v0, v85, v0 dst_sel:DWORD dst_unused:UNUSED_PAD src0_sel:WORD_1 src1_sel:DWORD
	v_cvt_f64_f32_e32 v[5:6], v2
	v_mov_b32_e32 v2, v4
	v_mad_u64_u32 v[7:8], s[2:3], s11, v22, v[2:3]
	v_mul_f64 v[5:6], v[5:6], s[12:13]
	v_fma_f16 v0, v85, v9, -v0
	v_mov_b32_e32 v4, v7
	v_cvt_f32_f16_e32 v0, v0
	s_movk_i32 s11, 0x40f
	s_mov_b32 s14, 0x8000
	v_lshlrev_b64 v[3:4], 2, v[3:4]
	s_movk_i32 s16, 0x1000
	v_and_or_b32 v2, v6, s15, v5
	v_cmp_ne_u32_e32 vcc, 0, v2
	v_cndmask_b32_e64 v2, 0, 1, vcc
	v_lshrrev_b32_e32 v5, 8, v6
	v_bfe_u32 v7, v6, 20, 11
	v_and_or_b32 v5, v5, s10, v2
	v_sub_u32_e32 v8, 0x3f1, v7
	v_or_b32_e32 v2, 0x1000, v5
	v_med3_i32 v8, v8, 0, 13
	v_lshrrev_b32_e32 v10, v8, v2
	v_lshlrev_b32_e32 v8, v8, v10
	v_cmp_ne_u32_e32 vcc, v8, v2
	v_cndmask_b32_e64 v2, 0, 1, vcc
	v_or_b32_e32 v2, v10, v2
	v_add_u32_e32 v10, 0xfffffc10, v7
	v_lshl_or_b32 v7, v10, 12, v5
	v_cmp_gt_i32_e32 vcc, 1, v10
	v_cndmask_b32_e32 v2, v7, v2, vcc
	v_and_b32_e32 v7, 7, v2
	v_cmp_lt_i32_e32 vcc, 5, v7
	v_cmp_eq_u32_e64 s[2:3], 3, v7
	v_cvt_f64_f32_e32 v[7:8], v0
	v_lshrrev_b32_e32 v2, 2, v2
	s_or_b64 vcc, s[2:3], vcc
	v_addc_co_u32_e32 v9, vcc, 0, v2, vcc
	v_mul_f64 v[7:8], v[7:8], s[12:13]
	v_mov_b32_e32 v2, 0x7c00
	v_cmp_gt_i32_e32 vcc, 31, v10
	v_cndmask_b32_e32 v0, v2, v9, vcc
	v_cmp_ne_u32_e32 vcc, 0, v5
	v_cndmask_b32_e64 v5, 0, 1, vcc
	v_lshl_or_b32 v5, v5, 9, v2
	v_cmp_eq_u32_e32 vcc, s11, v10
	v_cndmask_b32_e32 v0, v0, v5, vcc
	v_lshrrev_b32_e32 v5, 16, v6
	v_and_or_b32 v9, v5, s14, v0
	v_and_or_b32 v0, v8, s15, v7
	v_cmp_ne_u32_e32 vcc, 0, v0
	v_cndmask_b32_e64 v0, 0, 1, vcc
	v_lshrrev_b32_e32 v5, 8, v8
	v_bfe_u32 v6, v8, 20, 11
	v_and_or_b32 v0, v5, s10, v0
	v_sub_u32_e32 v7, 0x3f1, v6
	v_or_b32_e32 v5, 0x1000, v0
	v_med3_i32 v7, v7, 0, 13
	v_lshrrev_b32_e32 v10, v7, v5
	v_lshlrev_b32_e32 v7, v7, v10
	v_cmp_ne_u32_e32 vcc, v7, v5
	v_cndmask_b32_e64 v5, 0, 1, vcc
	v_add_u32_e32 v7, 0xfffffc10, v6
	v_or_b32_e32 v5, v10, v5
	v_lshl_or_b32 v6, v7, 12, v0
	v_cmp_gt_i32_e32 vcc, 1, v7
	v_cndmask_b32_e32 v5, v6, v5, vcc
	v_and_b32_e32 v6, 7, v5
	v_cmp_lt_i32_e32 vcc, 5, v6
	v_cmp_eq_u32_e64 s[2:3], 3, v6
	v_lshrrev_b32_e32 v5, 2, v5
	s_or_b64 vcc, s[2:3], vcc
	v_addc_co_u32_e32 v5, vcc, 0, v5, vcc
	v_cmp_gt_i32_e32 vcc, 31, v7
	v_cndmask_b32_e32 v10, v2, v5, vcc
	v_mad_u64_u32 v[5:6], s[2:3], s8, v83, 0
	v_cmp_ne_u32_e32 vcc, 0, v0
	v_cndmask_b32_e64 v0, 0, 1, vcc
	v_lshl_or_b32 v0, v0, 9, v2
	v_cmp_eq_u32_e32 vcc, s11, v7
	v_cndmask_b32_e32 v10, v10, v0, vcc
	v_mov_b32_e32 v0, v6
	v_mad_u64_u32 v[6:7], s[2:3], s9, v83, v[0:1]
	v_lshrrev_b32_e32 v0, 16, v1
	v_mul_f16_sdwa v7, v84, v0 dst_sel:DWORD dst_unused:UNUSED_PAD src0_sel:WORD_1 src1_sel:DWORD
	v_fma_f16 v7, v84, v1, v7
	v_cvt_f32_f16_e32 v7, v7
	v_lshrrev_b32_e32 v8, 16, v8
	v_and_or_b32 v10, v8, s14, v10
	v_and_b32_e32 v9, 0xffff, v9
	v_cvt_f64_f32_e32 v[7:8], v7
	v_lshl_or_b32 v9, v10, 16, v9
	v_mov_b32_e32 v10, s7
	v_add_co_u32_e32 v11, vcc, s6, v3
	v_mul_f64 v[7:8], v[7:8], s[12:13]
	v_addc_co_u32_e32 v10, vcc, v10, v4, vcc
	v_lshlrev_b64 v[3:4], 2, v[5:6]
	v_mul_f16_sdwa v1, v84, v1 dst_sel:DWORD dst_unused:UNUSED_PAD src0_sel:WORD_1 src1_sel:DWORD
	v_add_co_u32_e32 v3, vcc, v11, v3
	v_addc_co_u32_e32 v4, vcc, v10, v4, vcc
	v_and_or_b32 v5, v8, s15, v7
	v_cmp_ne_u32_e32 vcc, 0, v5
	v_fma_f16 v0, v84, v0, -v1
	v_cndmask_b32_e64 v5, 0, 1, vcc
	v_lshrrev_b32_e32 v6, 8, v8
	v_bfe_u32 v7, v8, 20, 11
	v_cvt_f32_f16_e32 v0, v0
	global_store_dword v[3:4], v9, off
	v_and_or_b32 v5, v6, s10, v5
	v_sub_u32_e32 v9, 0x3f1, v7
	v_or_b32_e32 v6, 0x1000, v5
	v_med3_i32 v9, v9, 0, 13
	v_lshrrev_b32_e32 v10, v9, v6
	v_lshlrev_b32_e32 v9, v9, v10
	v_cvt_f64_f32_e32 v[0:1], v0
	v_cmp_ne_u32_e32 vcc, v9, v6
	v_cndmask_b32_e64 v6, 0, 1, vcc
	v_add_u32_e32 v7, 0xfffffc10, v7
	v_or_b32_e32 v6, v10, v6
	v_lshl_or_b32 v9, v7, 12, v5
	v_cmp_gt_i32_e32 vcc, 1, v7
	v_cndmask_b32_e32 v6, v9, v6, vcc
	v_mul_f64 v[0:1], v[0:1], s[12:13]
	v_and_b32_e32 v9, 7, v6
	v_cmp_lt_i32_e32 vcc, 5, v9
	v_cmp_eq_u32_e64 s[2:3], 3, v9
	v_lshrrev_b32_e32 v6, 2, v6
	s_or_b64 vcc, s[2:3], vcc
	v_addc_co_u32_e32 v6, vcc, 0, v6, vcc
	v_cmp_gt_i32_e32 vcc, 31, v7
	v_cndmask_b32_e32 v6, v2, v6, vcc
	v_cmp_ne_u32_e32 vcc, 0, v5
	v_cndmask_b32_e64 v5, 0, 1, vcc
	v_lshl_or_b32 v5, v5, 9, v2
	v_cmp_eq_u32_e32 vcc, s11, v7
	v_and_or_b32 v0, v1, s15, v0
	v_cndmask_b32_e32 v5, v6, v5, vcc
	v_lshrrev_b32_e32 v6, 16, v8
	v_cmp_ne_u32_e32 vcc, 0, v0
	v_and_or_b32 v7, v6, s14, v5
	v_cndmask_b32_e64 v0, 0, 1, vcc
	v_lshrrev_b32_e32 v5, 8, v1
	v_bfe_u32 v6, v1, 20, 11
	v_and_or_b32 v0, v5, s10, v0
	v_sub_u32_e32 v8, 0x3f1, v6
	v_or_b32_e32 v5, 0x1000, v0
	v_med3_i32 v8, v8, 0, 13
	v_lshrrev_b32_e32 v9, v8, v5
	v_lshlrev_b32_e32 v8, v8, v9
	v_cmp_ne_u32_e32 vcc, v8, v5
	v_cndmask_b32_e64 v5, 0, 1, vcc
	v_add_u32_e32 v8, 0xfffffc10, v6
	v_or_b32_e32 v5, v9, v5
	v_lshl_or_b32 v6, v8, 12, v0
	v_cmp_gt_i32_e32 vcc, 1, v8
	v_cndmask_b32_e32 v5, v6, v5, vcc
	v_and_b32_e32 v6, 7, v5
	v_cmp_lt_i32_e32 vcc, 5, v6
	v_cmp_eq_u32_e64 s[2:3], 3, v6
	v_lshrrev_b32_e32 v5, 2, v5
	s_or_b64 vcc, s[2:3], vcc
	v_addc_co_u32_e32 v5, vcc, 0, v5, vcc
	v_cmp_gt_i32_e32 vcc, 31, v8
	v_cndmask_b32_e32 v9, v2, v5, vcc
	ds_read2_b32 v[5:6], v52 offset0:38 offset1:185
	v_cmp_ne_u32_e32 vcc, 0, v0
	v_cndmask_b32_e64 v0, 0, 1, vcc
	v_lshl_or_b32 v0, v0, 9, v2
	v_cmp_eq_u32_e32 vcc, s11, v8
	v_cndmask_b32_e32 v0, v9, v0, vcc
	v_lshrrev_b32_e32 v1, 16, v1
	s_waitcnt lgkmcnt(0)
	v_lshrrev_b32_e32 v9, 16, v5
	v_and_or_b32 v8, v1, s14, v0
	v_mul_f16_sdwa v0, v82, v9 dst_sel:DWORD dst_unused:UNUSED_PAD src0_sel:WORD_1 src1_sel:DWORD
	v_fma_f16 v0, v82, v5, v0
	v_cvt_f32_f16_e32 v0, v0
	v_and_b32_e32 v7, 0xffff, v7
	v_lshl_or_b32 v10, v8, 16, v7
	s_mul_i32 s2, s9, 0x93
	v_cvt_f64_f32_e32 v[0:1], v0
	s_mul_hi_u32 s3, s8, 0x93
	s_add_i32 s3, s3, s2
	s_mul_i32 s2, s8, 0x93
	v_mul_f64 v[7:8], v[0:1], s[12:13]
	s_lshl_b64 s[6:7], s[2:3], 2
	v_mov_b32_e32 v1, s7
	v_add_co_u32_e32 v3, vcc, s6, v3
	v_addc_co_u32_e32 v4, vcc, v4, v1, vcc
	global_store_dword v[3:4], v10, off
	v_and_or_b32 v0, v8, s15, v7
	v_cmp_ne_u32_e32 vcc, 0, v0
	v_cndmask_b32_e64 v0, 0, 1, vcc
	v_lshrrev_b32_e32 v7, 8, v8
	v_bfe_u32 v10, v8, 20, 11
	v_and_or_b32 v0, v7, s10, v0
	v_sub_u32_e32 v11, 0x3f1, v10
	v_or_b32_e32 v7, 0x1000, v0
	v_med3_i32 v11, v11, 0, 13
	v_lshrrev_b32_e32 v12, v11, v7
	v_lshlrev_b32_e32 v11, v11, v12
	v_mul_f16_sdwa v5, v82, v5 dst_sel:DWORD dst_unused:UNUSED_PAD src0_sel:WORD_1 src1_sel:DWORD
	v_cmp_ne_u32_e32 vcc, v11, v7
	v_fma_f16 v5, v82, v9, -v5
	v_cndmask_b32_e64 v7, 0, 1, vcc
	v_add_u32_e32 v11, 0xfffffc10, v10
	v_cvt_f32_f16_e32 v5, v5
	v_or_b32_e32 v7, v12, v7
	v_lshl_or_b32 v10, v11, 12, v0
	v_cmp_gt_i32_e32 vcc, 1, v11
	v_cndmask_b32_e32 v7, v10, v7, vcc
	v_and_b32_e32 v10, 7, v7
	v_cmp_lt_i32_e32 vcc, 5, v10
	v_cmp_eq_u32_e64 s[2:3], 3, v10
	v_cvt_f64_f32_e32 v[9:10], v5
	v_lshrrev_b32_e32 v7, 2, v7
	s_or_b64 vcc, s[2:3], vcc
	v_addc_co_u32_e32 v5, vcc, 0, v7, vcc
	v_mul_f64 v[9:10], v[9:10], s[12:13]
	v_cmp_gt_i32_e32 vcc, 31, v11
	v_cndmask_b32_e32 v5, v2, v5, vcc
	v_cmp_ne_u32_e32 vcc, 0, v0
	v_cndmask_b32_e64 v0, 0, 1, vcc
	v_lshl_or_b32 v0, v0, 9, v2
	v_cmp_eq_u32_e32 vcc, s11, v11
	v_cndmask_b32_e32 v0, v5, v0, vcc
	v_lshrrev_b32_e32 v5, 16, v8
	v_and_or_b32 v0, v5, s14, v0
	v_and_or_b32 v5, v10, s15, v9
	v_cmp_ne_u32_e32 vcc, 0, v5
	v_cndmask_b32_e64 v5, 0, 1, vcc
	v_lshrrev_b32_e32 v7, 8, v10
	v_bfe_u32 v8, v10, 20, 11
	v_and_or_b32 v5, v7, s10, v5
	v_sub_u32_e32 v9, 0x3f1, v8
	v_or_b32_e32 v7, 0x1000, v5
	v_med3_i32 v9, v9, 0, 13
	v_lshrrev_b32_e32 v11, v9, v7
	v_lshlrev_b32_e32 v9, v9, v11
	v_cmp_ne_u32_e32 vcc, v9, v7
	v_cndmask_b32_e64 v7, 0, 1, vcc
	v_add_u32_e32 v9, 0xfffffc10, v8
	v_or_b32_e32 v7, v11, v7
	v_lshl_or_b32 v8, v9, 12, v5
	v_cmp_gt_i32_e32 vcc, 1, v9
	v_cndmask_b32_e32 v7, v8, v7, vcc
	v_and_b32_e32 v8, 7, v7
	v_cmp_lt_i32_e32 vcc, 5, v8
	v_cmp_eq_u32_e64 s[2:3], 3, v8
	v_lshrrev_b32_e32 v7, 2, v7
	s_or_b64 vcc, s[2:3], vcc
	v_addc_co_u32_e32 v7, vcc, 0, v7, vcc
	v_cmp_gt_i32_e32 vcc, 31, v9
	v_lshrrev_b32_e32 v12, 16, v6
	v_cndmask_b32_e32 v11, v2, v7, vcc
	v_mul_f16_sdwa v7, v81, v12 dst_sel:DWORD dst_unused:UNUSED_PAD src0_sel:WORD_1 src1_sel:DWORD
	v_fma_f16 v7, v81, v6, v7
	v_cvt_f32_f16_e32 v7, v7
	v_cmp_ne_u32_e32 vcc, 0, v5
	v_cndmask_b32_e64 v5, 0, 1, vcc
	v_lshl_or_b32 v5, v5, 9, v2
	v_cvt_f64_f32_e32 v[7:8], v7
	v_cmp_eq_u32_e32 vcc, s11, v9
	v_cndmask_b32_e32 v5, v11, v5, vcc
	v_lshrrev_b32_e32 v9, 16, v10
	v_mul_f64 v[7:8], v[7:8], s[12:13]
	v_and_or_b32 v5, v9, s14, v5
	v_and_b32_e32 v0, 0xffff, v0
	v_add_co_u32_e32 v3, vcc, s6, v3
	v_lshl_or_b32 v0, v5, 16, v0
	v_addc_co_u32_e32 v4, vcc, v4, v1, vcc
	global_store_dword v[3:4], v0, off
	v_and_or_b32 v0, v8, s15, v7
	v_cmp_ne_u32_e32 vcc, 0, v0
	v_cndmask_b32_e64 v0, 0, 1, vcc
	v_lshrrev_b32_e32 v5, 8, v8
	v_bfe_u32 v7, v8, 20, 11
	v_and_or_b32 v0, v5, s10, v0
	v_sub_u32_e32 v9, 0x3f1, v7
	v_or_b32_e32 v5, 0x1000, v0
	v_med3_i32 v9, v9, 0, 13
	v_lshrrev_b32_e32 v10, v9, v5
	v_lshlrev_b32_e32 v9, v9, v10
	v_mul_f16_sdwa v6, v81, v6 dst_sel:DWORD dst_unused:UNUSED_PAD src0_sel:WORD_1 src1_sel:DWORD
	v_cmp_ne_u32_e32 vcc, v9, v5
	v_fma_f16 v6, v81, v12, -v6
	v_cndmask_b32_e64 v5, 0, 1, vcc
	v_add_u32_e32 v7, 0xfffffc10, v7
	v_cvt_f32_f16_e32 v6, v6
	v_or_b32_e32 v5, v10, v5
	v_lshl_or_b32 v9, v7, 12, v0
	v_cmp_gt_i32_e32 vcc, 1, v7
	v_cndmask_b32_e32 v5, v9, v5, vcc
	v_and_b32_e32 v9, 7, v5
	v_cmp_lt_i32_e32 vcc, 5, v9
	v_cmp_eq_u32_e64 s[2:3], 3, v9
	v_lshrrev_b32_e32 v9, 2, v5
	v_cvt_f64_f32_e32 v[5:6], v6
	s_or_b64 vcc, s[2:3], vcc
	v_addc_co_u32_e32 v9, vcc, 0, v9, vcc
	v_mul_f64 v[5:6], v[5:6], s[12:13]
	v_cmp_gt_i32_e32 vcc, 31, v7
	v_cndmask_b32_e32 v9, v2, v9, vcc
	v_cmp_ne_u32_e32 vcc, 0, v0
	v_cndmask_b32_e64 v0, 0, 1, vcc
	v_lshl_or_b32 v0, v0, 9, v2
	v_cmp_eq_u32_e32 vcc, s11, v7
	v_cndmask_b32_e32 v0, v9, v0, vcc
	v_and_or_b32 v5, v6, s15, v5
	v_lshrrev_b32_e32 v7, 16, v8
	v_cmp_ne_u32_e32 vcc, 0, v5
	v_and_or_b32 v0, v7, s14, v0
	v_cndmask_b32_e64 v5, 0, 1, vcc
	v_lshrrev_b32_e32 v7, 8, v6
	v_bfe_u32 v8, v6, 20, 11
	v_and_or_b32 v5, v7, s10, v5
	v_sub_u32_e32 v9, 0x3f1, v8
	v_or_b32_e32 v7, 0x1000, v5
	v_med3_i32 v9, v9, 0, 13
	v_lshrrev_b32_e32 v10, v9, v7
	v_lshlrev_b32_e32 v9, v9, v10
	v_cmp_ne_u32_e32 vcc, v9, v7
	v_cndmask_b32_e64 v7, 0, 1, vcc
	v_add_u32_e32 v11, 0xfffffc10, v8
	v_or_b32_e32 v7, v10, v7
	v_lshl_or_b32 v8, v11, 12, v5
	v_cmp_gt_i32_e32 vcc, 1, v11
	v_cndmask_b32_e32 v7, v8, v7, vcc
	v_and_b32_e32 v8, 7, v7
	v_cmp_lt_i32_e32 vcc, 5, v8
	v_cmp_eq_u32_e64 s[2:3], 3, v8
	v_lshrrev_b32_e32 v9, 2, v7
	ds_read2_b32 v[7:8], v51 offset0:76 offset1:223
	s_or_b64 vcc, s[2:3], vcc
	v_addc_co_u32_e32 v9, vcc, 0, v9, vcc
	v_cmp_gt_i32_e32 vcc, 31, v11
	s_waitcnt lgkmcnt(0)
	v_lshrrev_b32_e32 v13, 16, v7
	v_cndmask_b32_e32 v12, v2, v9, vcc
	v_mul_f16_sdwa v9, v80, v13 dst_sel:DWORD dst_unused:UNUSED_PAD src0_sel:WORD_1 src1_sel:DWORD
	v_fma_f16 v9, v80, v7, v9
	v_cvt_f32_f16_e32 v9, v9
	v_cmp_ne_u32_e32 vcc, 0, v5
	v_cndmask_b32_e64 v5, 0, 1, vcc
	v_lshl_or_b32 v5, v5, 9, v2
	v_cvt_f64_f32_e32 v[9:10], v9
	v_cmp_eq_u32_e32 vcc, s11, v11
	v_cndmask_b32_e32 v5, v12, v5, vcc
	v_lshrrev_b32_e32 v6, 16, v6
	v_and_or_b32 v11, v6, s14, v5
	v_mul_f64 v[5:6], v[9:10], s[12:13]
	v_and_b32_e32 v0, 0xffff, v0
	v_add_co_u32_e32 v3, vcc, s6, v3
	v_lshl_or_b32 v0, v11, 16, v0
	v_addc_co_u32_e32 v4, vcc, v4, v1, vcc
	global_store_dword v[3:4], v0, off
	v_and_or_b32 v0, v6, s15, v5
	v_cmp_ne_u32_e32 vcc, 0, v0
	v_cndmask_b32_e64 v0, 0, 1, vcc
	v_lshrrev_b32_e32 v5, 8, v6
	v_bfe_u32 v9, v6, 20, 11
	v_and_or_b32 v0, v5, s10, v0
	v_sub_u32_e32 v10, 0x3f1, v9
	v_or_b32_e32 v5, 0x1000, v0
	v_med3_i32 v10, v10, 0, 13
	v_lshrrev_b32_e32 v11, v10, v5
	v_lshlrev_b32_e32 v10, v10, v11
	v_cmp_ne_u32_e32 vcc, v10, v5
	v_mul_f16_sdwa v7, v80, v7 dst_sel:DWORD dst_unused:UNUSED_PAD src0_sel:WORD_1 src1_sel:DWORD
	v_cndmask_b32_e64 v5, 0, 1, vcc
	v_fma_f16 v7, v80, v13, -v7
	v_or_b32_e32 v5, v11, v5
	v_add_u32_e32 v11, 0xfffffc10, v9
	v_cvt_f32_f16_e32 v7, v7
	v_lshl_or_b32 v9, v11, 12, v0
	v_cmp_gt_i32_e32 vcc, 1, v11
	v_cndmask_b32_e32 v5, v9, v5, vcc
	v_and_b32_e32 v9, 7, v5
	v_cmp_lt_i32_e32 vcc, 5, v9
	v_cmp_eq_u32_e64 s[2:3], 3, v9
	v_cvt_f64_f32_e32 v[9:10], v7
	v_lshrrev_b32_e32 v5, 2, v5
	s_or_b64 vcc, s[2:3], vcc
	v_addc_co_u32_e32 v5, vcc, 0, v5, vcc
	v_mul_f64 v[9:10], v[9:10], s[12:13]
	v_cmp_gt_i32_e32 vcc, 31, v11
	v_cndmask_b32_e32 v5, v2, v5, vcc
	v_cmp_ne_u32_e32 vcc, 0, v0
	v_cndmask_b32_e64 v0, 0, 1, vcc
	v_lshl_or_b32 v0, v0, 9, v2
	v_cmp_eq_u32_e32 vcc, s11, v11
	v_cndmask_b32_e32 v0, v5, v0, vcc
	v_lshrrev_b32_e32 v5, 16, v6
	v_and_or_b32 v0, v5, s14, v0
	v_and_or_b32 v5, v10, s15, v9
	v_cmp_ne_u32_e32 vcc, 0, v5
	v_cndmask_b32_e64 v5, 0, 1, vcc
	v_lshrrev_b32_e32 v6, 8, v10
	v_bfe_u32 v7, v10, 20, 11
	v_and_or_b32 v5, v6, s10, v5
	v_sub_u32_e32 v9, 0x3f1, v7
	v_or_b32_e32 v6, 0x1000, v5
	v_med3_i32 v9, v9, 0, 13
	v_lshrrev_b32_e32 v11, v9, v6
	v_lshlrev_b32_e32 v9, v9, v11
	v_cmp_ne_u32_e32 vcc, v9, v6
	v_cndmask_b32_e64 v6, 0, 1, vcc
	v_add_u32_e32 v7, 0xfffffc10, v7
	v_or_b32_e32 v6, v11, v6
	v_lshl_or_b32 v9, v7, 12, v5
	v_cmp_gt_i32_e32 vcc, 1, v7
	v_cndmask_b32_e32 v6, v9, v6, vcc
	v_and_b32_e32 v9, 7, v6
	v_cmp_lt_i32_e32 vcc, 5, v9
	v_cmp_eq_u32_e64 s[2:3], 3, v9
	v_lshrrev_b32_e32 v6, 2, v6
	s_or_b64 vcc, s[2:3], vcc
	v_addc_co_u32_e32 v6, vcc, 0, v6, vcc
	v_cmp_gt_i32_e32 vcc, 31, v7
	v_lshrrev_b32_e32 v11, 16, v8
	v_cndmask_b32_e32 v9, v2, v6, vcc
	v_mul_f16_sdwa v6, v79, v11 dst_sel:DWORD dst_unused:UNUSED_PAD src0_sel:WORD_1 src1_sel:DWORD
	v_fma_f16 v6, v79, v8, v6
	v_cvt_f32_f16_e32 v6, v6
	v_cmp_ne_u32_e32 vcc, 0, v5
	v_cndmask_b32_e64 v5, 0, 1, vcc
	v_lshl_or_b32 v12, v5, 9, v2
	v_cvt_f64_f32_e32 v[5:6], v6
	v_cmp_eq_u32_e32 vcc, s11, v7
	v_cndmask_b32_e32 v7, v9, v12, vcc
	v_lshrrev_b32_e32 v9, 16, v10
	v_mul_f64 v[5:6], v[5:6], s[12:13]
	v_and_or_b32 v7, v9, s14, v7
	v_and_b32_e32 v0, 0xffff, v0
	v_add_co_u32_e32 v3, vcc, s6, v3
	v_lshl_or_b32 v0, v7, 16, v0
	v_addc_co_u32_e32 v4, vcc, v4, v1, vcc
	global_store_dword v[3:4], v0, off
	v_and_or_b32 v0, v6, s15, v5
	v_cmp_ne_u32_e32 vcc, 0, v0
	v_cndmask_b32_e64 v0, 0, 1, vcc
	v_lshrrev_b32_e32 v5, 8, v6
	v_bfe_u32 v7, v6, 20, 11
	v_and_or_b32 v0, v5, s10, v0
	v_sub_u32_e32 v9, 0x3f1, v7
	v_or_b32_e32 v5, 0x1000, v0
	v_med3_i32 v9, v9, 0, 13
	v_lshrrev_b32_e32 v10, v9, v5
	v_lshlrev_b32_e32 v9, v9, v10
	v_mul_f16_sdwa v8, v79, v8 dst_sel:DWORD dst_unused:UNUSED_PAD src0_sel:WORD_1 src1_sel:DWORD
	v_cmp_ne_u32_e32 vcc, v9, v5
	v_fma_f16 v8, v79, v11, -v8
	v_cndmask_b32_e64 v5, 0, 1, vcc
	v_add_u32_e32 v9, 0xfffffc10, v7
	v_cvt_f32_f16_e32 v8, v8
	v_or_b32_e32 v5, v10, v5
	v_lshl_or_b32 v7, v9, 12, v0
	v_cmp_gt_i32_e32 vcc, 1, v9
	v_cndmask_b32_e32 v5, v7, v5, vcc
	v_and_b32_e32 v7, 7, v5
	v_cmp_lt_i32_e32 vcc, 5, v7
	v_cmp_eq_u32_e64 s[2:3], 3, v7
	v_cvt_f64_f32_e32 v[7:8], v8
	v_lshrrev_b32_e32 v5, 2, v5
	s_or_b64 vcc, s[2:3], vcc
	v_addc_co_u32_e32 v5, vcc, 0, v5, vcc
	v_mul_f64 v[7:8], v[7:8], s[12:13]
	v_cmp_gt_i32_e32 vcc, 31, v9
	v_cndmask_b32_e32 v5, v2, v5, vcc
	v_cmp_ne_u32_e32 vcc, 0, v0
	v_cndmask_b32_e64 v0, 0, 1, vcc
	v_lshl_or_b32 v0, v0, 9, v2
	v_cmp_eq_u32_e32 vcc, s11, v9
	v_cndmask_b32_e32 v0, v5, v0, vcc
	v_lshrrev_b32_e32 v5, 16, v6
	v_and_or_b32 v0, v5, s14, v0
	v_and_or_b32 v5, v8, s15, v7
	v_cmp_ne_u32_e32 vcc, 0, v5
	v_cndmask_b32_e64 v5, 0, 1, vcc
	v_lshrrev_b32_e32 v6, 8, v8
	v_and_or_b32 v7, v6, s10, v5
	v_bfe_u32 v6, v8, 20, 11
	v_sub_u32_e32 v9, 0x3f1, v6
	v_or_b32_e32 v5, 0x1000, v7
	v_med3_i32 v9, v9, 0, 13
	v_lshrrev_b32_e32 v10, v9, v5
	v_lshlrev_b32_e32 v9, v9, v10
	v_cmp_ne_u32_e32 vcc, v9, v5
	v_cndmask_b32_e64 v5, 0, 1, vcc
	v_add_u32_e32 v11, 0xfffffc10, v6
	v_or_b32_e32 v5, v10, v5
	v_lshl_or_b32 v6, v11, 12, v7
	v_cmp_gt_i32_e32 vcc, 1, v11
	v_cndmask_b32_e32 v5, v6, v5, vcc
	v_and_b32_e32 v6, 7, v5
	v_lshrrev_b32_e32 v9, 2, v5
	v_add_u32_e32 v5, 0xd00, v71
	v_cmp_lt_i32_e32 vcc, 5, v6
	v_cmp_eq_u32_e64 s[2:3], 3, v6
	ds_read2_b32 v[5:6], v5 offset0:50 offset1:197
	s_or_b64 vcc, s[2:3], vcc
	v_addc_co_u32_e32 v9, vcc, 0, v9, vcc
	v_cmp_gt_i32_e32 vcc, 31, v11
	s_waitcnt lgkmcnt(0)
	v_lshrrev_b32_e32 v13, 16, v5
	v_cndmask_b32_e32 v12, v2, v9, vcc
	v_mul_f16_sdwa v9, v78, v13 dst_sel:DWORD dst_unused:UNUSED_PAD src0_sel:WORD_1 src1_sel:DWORD
	v_fma_f16 v9, v78, v5, v9
	v_cvt_f32_f16_e32 v9, v9
	v_cmp_ne_u32_e32 vcc, 0, v7
	v_cndmask_b32_e64 v7, 0, 1, vcc
	v_lshl_or_b32 v7, v7, 9, v2
	v_cvt_f64_f32_e32 v[9:10], v9
	v_cmp_eq_u32_e32 vcc, s11, v11
	v_cndmask_b32_e32 v7, v12, v7, vcc
	v_lshrrev_b32_e32 v8, 16, v8
	v_and_or_b32 v11, v8, s14, v7
	v_mul_f64 v[7:8], v[9:10], s[12:13]
	v_and_b32_e32 v0, 0xffff, v0
	v_add_co_u32_e32 v3, vcc, s6, v3
	v_lshl_or_b32 v0, v11, 16, v0
	v_addc_co_u32_e32 v4, vcc, v4, v1, vcc
	global_store_dword v[3:4], v0, off
	v_and_or_b32 v0, v8, s15, v7
	v_cmp_ne_u32_e32 vcc, 0, v0
	v_cndmask_b32_e64 v0, 0, 1, vcc
	v_lshrrev_b32_e32 v7, 8, v8
	v_bfe_u32 v9, v8, 20, 11
	v_and_or_b32 v0, v7, s10, v0
	v_sub_u32_e32 v10, 0x3f1, v9
	v_or_b32_e32 v7, 0x1000, v0
	v_med3_i32 v10, v10, 0, 13
	v_lshrrev_b32_e32 v11, v10, v7
	v_lshlrev_b32_e32 v10, v10, v11
	v_cmp_ne_u32_e32 vcc, v10, v7
	v_mul_f16_sdwa v5, v78, v5 dst_sel:DWORD dst_unused:UNUSED_PAD src0_sel:WORD_1 src1_sel:DWORD
	v_cndmask_b32_e64 v7, 0, 1, vcc
	v_fma_f16 v5, v78, v13, -v5
	v_or_b32_e32 v7, v11, v7
	v_add_u32_e32 v11, 0xfffffc10, v9
	v_cvt_f32_f16_e32 v5, v5
	v_lshl_or_b32 v9, v11, 12, v0
	v_cmp_gt_i32_e32 vcc, 1, v11
	v_cndmask_b32_e32 v7, v9, v7, vcc
	v_and_b32_e32 v9, 7, v7
	v_cmp_lt_i32_e32 vcc, 5, v9
	v_cmp_eq_u32_e64 s[2:3], 3, v9
	v_cvt_f64_f32_e32 v[9:10], v5
	v_lshrrev_b32_e32 v7, 2, v7
	s_or_b64 vcc, s[2:3], vcc
	v_addc_co_u32_e32 v5, vcc, 0, v7, vcc
	v_mul_f64 v[9:10], v[9:10], s[12:13]
	v_cmp_gt_i32_e32 vcc, 31, v11
	v_cndmask_b32_e32 v5, v2, v5, vcc
	v_cmp_ne_u32_e32 vcc, 0, v0
	v_cndmask_b32_e64 v0, 0, 1, vcc
	v_lshl_or_b32 v0, v0, 9, v2
	v_cmp_eq_u32_e32 vcc, s11, v11
	v_cndmask_b32_e32 v0, v5, v0, vcc
	v_lshrrev_b32_e32 v5, 16, v8
	v_and_or_b32 v0, v5, s14, v0
	v_and_or_b32 v5, v10, s15, v9
	v_cmp_ne_u32_e32 vcc, 0, v5
	v_cndmask_b32_e64 v5, 0, 1, vcc
	v_lshrrev_b32_e32 v7, 8, v10
	v_bfe_u32 v8, v10, 20, 11
	v_and_or_b32 v5, v7, s10, v5
	v_sub_u32_e32 v9, 0x3f1, v8
	v_or_b32_e32 v7, 0x1000, v5
	v_med3_i32 v9, v9, 0, 13
	v_lshrrev_b32_e32 v11, v9, v7
	v_lshlrev_b32_e32 v9, v9, v11
	v_cmp_ne_u32_e32 vcc, v9, v7
	v_cndmask_b32_e64 v7, 0, 1, vcc
	v_add_u32_e32 v9, 0xfffffc10, v8
	v_or_b32_e32 v7, v11, v7
	v_lshl_or_b32 v8, v9, 12, v5
	v_cmp_gt_i32_e32 vcc, 1, v9
	v_cndmask_b32_e32 v7, v8, v7, vcc
	v_and_b32_e32 v8, 7, v7
	v_cmp_lt_i32_e32 vcc, 5, v8
	v_cmp_eq_u32_e64 s[2:3], 3, v8
	v_lshrrev_b32_e32 v7, 2, v7
	s_or_b64 vcc, s[2:3], vcc
	v_addc_co_u32_e32 v7, vcc, 0, v7, vcc
	v_cmp_gt_i32_e32 vcc, 31, v9
	v_lshrrev_b32_e32 v12, 16, v6
	v_cndmask_b32_e32 v11, v2, v7, vcc
	v_mul_f16_sdwa v7, v77, v12 dst_sel:DWORD dst_unused:UNUSED_PAD src0_sel:WORD_1 src1_sel:DWORD
	v_fma_f16 v7, v77, v6, v7
	v_cvt_f32_f16_e32 v7, v7
	v_cmp_ne_u32_e32 vcc, 0, v5
	v_cndmask_b32_e64 v5, 0, 1, vcc
	v_lshl_or_b32 v5, v5, 9, v2
	v_cvt_f64_f32_e32 v[7:8], v7
	v_cmp_eq_u32_e32 vcc, s11, v9
	v_cndmask_b32_e32 v5, v11, v5, vcc
	v_lshrrev_b32_e32 v9, 16, v10
	v_mul_f64 v[7:8], v[7:8], s[12:13]
	v_and_or_b32 v5, v9, s14, v5
	v_and_b32_e32 v0, 0xffff, v0
	v_add_co_u32_e32 v3, vcc, s6, v3
	v_lshl_or_b32 v0, v5, 16, v0
	v_addc_co_u32_e32 v4, vcc, v4, v1, vcc
	global_store_dword v[3:4], v0, off
	v_and_or_b32 v0, v8, s15, v7
	v_cmp_ne_u32_e32 vcc, 0, v0
	v_cndmask_b32_e64 v0, 0, 1, vcc
	v_lshrrev_b32_e32 v5, 8, v8
	v_bfe_u32 v7, v8, 20, 11
	v_and_or_b32 v0, v5, s10, v0
	v_sub_u32_e32 v9, 0x3f1, v7
	v_or_b32_e32 v5, 0x1000, v0
	v_med3_i32 v9, v9, 0, 13
	v_lshrrev_b32_e32 v10, v9, v5
	v_lshlrev_b32_e32 v9, v9, v10
	v_mul_f16_sdwa v6, v77, v6 dst_sel:DWORD dst_unused:UNUSED_PAD src0_sel:WORD_1 src1_sel:DWORD
	v_cmp_ne_u32_e32 vcc, v9, v5
	v_fma_f16 v6, v77, v12, -v6
	v_cndmask_b32_e64 v5, 0, 1, vcc
	v_add_u32_e32 v7, 0xfffffc10, v7
	v_cvt_f32_f16_e32 v6, v6
	v_or_b32_e32 v5, v10, v5
	v_lshl_or_b32 v9, v7, 12, v0
	v_cmp_gt_i32_e32 vcc, 1, v7
	v_cndmask_b32_e32 v5, v9, v5, vcc
	v_and_b32_e32 v9, 7, v5
	v_cmp_lt_i32_e32 vcc, 5, v9
	v_cmp_eq_u32_e64 s[2:3], 3, v9
	v_lshrrev_b32_e32 v9, 2, v5
	v_cvt_f64_f32_e32 v[5:6], v6
	s_or_b64 vcc, s[2:3], vcc
	v_addc_co_u32_e32 v9, vcc, 0, v9, vcc
	v_mul_f64 v[5:6], v[5:6], s[12:13]
	v_cmp_gt_i32_e32 vcc, 31, v7
	v_cndmask_b32_e32 v9, v2, v9, vcc
	v_cmp_ne_u32_e32 vcc, 0, v0
	v_cndmask_b32_e64 v0, 0, 1, vcc
	v_lshl_or_b32 v0, v0, 9, v2
	v_cmp_eq_u32_e32 vcc, s11, v7
	v_cndmask_b32_e32 v0, v9, v0, vcc
	v_and_or_b32 v5, v6, s15, v5
	v_lshrrev_b32_e32 v7, 16, v8
	v_cmp_ne_u32_e32 vcc, 0, v5
	v_and_or_b32 v0, v7, s14, v0
	v_cndmask_b32_e64 v5, 0, 1, vcc
	v_lshrrev_b32_e32 v7, 8, v6
	v_bfe_u32 v8, v6, 20, 11
	v_and_or_b32 v5, v7, s10, v5
	v_sub_u32_e32 v9, 0x3f1, v8
	v_or_b32_e32 v7, 0x1000, v5
	v_med3_i32 v9, v9, 0, 13
	v_lshrrev_b32_e32 v10, v9, v7
	v_lshlrev_b32_e32 v9, v9, v10
	v_cmp_ne_u32_e32 vcc, v9, v7
	v_cndmask_b32_e64 v7, 0, 1, vcc
	v_add_u32_e32 v11, 0xfffffc10, v8
	v_or_b32_e32 v7, v10, v7
	v_lshl_or_b32 v8, v11, 12, v5
	v_cmp_gt_i32_e32 vcc, 1, v11
	v_cndmask_b32_e32 v7, v8, v7, vcc
	v_and_b32_e32 v8, 7, v7
	v_cmp_lt_i32_e32 vcc, 5, v8
	v_cmp_eq_u32_e64 s[2:3], 3, v8
	v_lshrrev_b32_e32 v9, 2, v7
	ds_read2_b32 v[7:8], v26 offset0:24 offset1:171
	s_or_b64 vcc, s[2:3], vcc
	v_addc_co_u32_e32 v9, vcc, 0, v9, vcc
	v_cmp_gt_i32_e32 vcc, 31, v11
	s_waitcnt lgkmcnt(0)
	v_lshrrev_b32_e32 v13, 16, v7
	v_cndmask_b32_e32 v12, v2, v9, vcc
	v_mul_f16_sdwa v9, v76, v13 dst_sel:DWORD dst_unused:UNUSED_PAD src0_sel:WORD_1 src1_sel:DWORD
	v_fma_f16 v9, v76, v7, v9
	v_cvt_f32_f16_e32 v9, v9
	v_cmp_ne_u32_e32 vcc, 0, v5
	v_cndmask_b32_e64 v5, 0, 1, vcc
	v_lshl_or_b32 v5, v5, 9, v2
	v_cvt_f64_f32_e32 v[9:10], v9
	v_cmp_eq_u32_e32 vcc, s11, v11
	v_cndmask_b32_e32 v5, v12, v5, vcc
	v_lshrrev_b32_e32 v6, 16, v6
	v_and_or_b32 v11, v6, s14, v5
	v_mul_f64 v[5:6], v[9:10], s[12:13]
	v_and_b32_e32 v0, 0xffff, v0
	v_add_co_u32_e32 v3, vcc, s6, v3
	v_lshl_or_b32 v0, v11, 16, v0
	v_addc_co_u32_e32 v4, vcc, v4, v1, vcc
	global_store_dword v[3:4], v0, off
	v_and_or_b32 v0, v6, s15, v5
	v_cmp_ne_u32_e32 vcc, 0, v0
	v_cndmask_b32_e64 v0, 0, 1, vcc
	v_lshrrev_b32_e32 v5, 8, v6
	v_bfe_u32 v9, v6, 20, 11
	v_and_or_b32 v0, v5, s10, v0
	v_sub_u32_e32 v10, 0x3f1, v9
	v_or_b32_e32 v5, 0x1000, v0
	v_med3_i32 v10, v10, 0, 13
	v_lshrrev_b32_e32 v11, v10, v5
	v_lshlrev_b32_e32 v10, v10, v11
	v_cmp_ne_u32_e32 vcc, v10, v5
	v_mul_f16_sdwa v7, v76, v7 dst_sel:DWORD dst_unused:UNUSED_PAD src0_sel:WORD_1 src1_sel:DWORD
	v_cndmask_b32_e64 v5, 0, 1, vcc
	v_fma_f16 v7, v76, v13, -v7
	v_or_b32_e32 v5, v11, v5
	v_add_u32_e32 v11, 0xfffffc10, v9
	v_cvt_f32_f16_e32 v7, v7
	v_lshl_or_b32 v9, v11, 12, v0
	v_cmp_gt_i32_e32 vcc, 1, v11
	v_cndmask_b32_e32 v5, v9, v5, vcc
	v_and_b32_e32 v9, 7, v5
	v_cmp_lt_i32_e32 vcc, 5, v9
	v_cmp_eq_u32_e64 s[2:3], 3, v9
	v_cvt_f64_f32_e32 v[9:10], v7
	v_lshrrev_b32_e32 v5, 2, v5
	s_or_b64 vcc, s[2:3], vcc
	v_addc_co_u32_e32 v5, vcc, 0, v5, vcc
	v_mul_f64 v[9:10], v[9:10], s[12:13]
	v_cmp_gt_i32_e32 vcc, 31, v11
	v_cndmask_b32_e32 v5, v2, v5, vcc
	v_cmp_ne_u32_e32 vcc, 0, v0
	v_cndmask_b32_e64 v0, 0, 1, vcc
	v_lshl_or_b32 v0, v0, 9, v2
	v_cmp_eq_u32_e32 vcc, s11, v11
	v_cndmask_b32_e32 v0, v5, v0, vcc
	v_lshrrev_b32_e32 v5, 16, v6
	v_and_or_b32 v0, v5, s14, v0
	v_and_or_b32 v5, v10, s15, v9
	v_cmp_ne_u32_e32 vcc, 0, v5
	v_cndmask_b32_e64 v5, 0, 1, vcc
	v_lshrrev_b32_e32 v6, 8, v10
	v_bfe_u32 v7, v10, 20, 11
	v_and_or_b32 v5, v6, s10, v5
	v_sub_u32_e32 v9, 0x3f1, v7
	v_or_b32_e32 v6, 0x1000, v5
	v_med3_i32 v9, v9, 0, 13
	v_lshrrev_b32_e32 v11, v9, v6
	v_lshlrev_b32_e32 v9, v9, v11
	v_cmp_ne_u32_e32 vcc, v9, v6
	v_cndmask_b32_e64 v6, 0, 1, vcc
	v_add_u32_e32 v7, 0xfffffc10, v7
	v_or_b32_e32 v6, v11, v6
	v_lshl_or_b32 v9, v7, 12, v5
	v_cmp_gt_i32_e32 vcc, 1, v7
	v_cndmask_b32_e32 v6, v9, v6, vcc
	v_and_b32_e32 v9, 7, v6
	v_cmp_lt_i32_e32 vcc, 5, v9
	v_cmp_eq_u32_e64 s[2:3], 3, v9
	v_lshrrev_b32_e32 v6, 2, v6
	s_or_b64 vcc, s[2:3], vcc
	v_addc_co_u32_e32 v6, vcc, 0, v6, vcc
	v_cmp_gt_i32_e32 vcc, 31, v7
	v_lshrrev_b32_e32 v11, 16, v8
	v_cndmask_b32_e32 v9, v2, v6, vcc
	v_mul_f16_sdwa v6, v75, v11 dst_sel:DWORD dst_unused:UNUSED_PAD src0_sel:WORD_1 src1_sel:DWORD
	v_fma_f16 v6, v75, v8, v6
	v_cvt_f32_f16_e32 v6, v6
	v_cmp_ne_u32_e32 vcc, 0, v5
	v_cndmask_b32_e64 v5, 0, 1, vcc
	v_lshl_or_b32 v12, v5, 9, v2
	v_cvt_f64_f32_e32 v[5:6], v6
	v_cmp_eq_u32_e32 vcc, s11, v7
	v_cndmask_b32_e32 v7, v9, v12, vcc
	v_lshrrev_b32_e32 v9, 16, v10
	v_mul_f64 v[5:6], v[5:6], s[12:13]
	v_and_or_b32 v7, v9, s14, v7
	v_and_b32_e32 v0, 0xffff, v0
	v_add_co_u32_e32 v3, vcc, s6, v3
	v_lshl_or_b32 v0, v7, 16, v0
	v_addc_co_u32_e32 v4, vcc, v4, v1, vcc
	global_store_dword v[3:4], v0, off
	v_and_or_b32 v0, v6, s15, v5
	v_cmp_ne_u32_e32 vcc, 0, v0
	v_cndmask_b32_e64 v0, 0, 1, vcc
	v_lshrrev_b32_e32 v5, 8, v6
	v_bfe_u32 v7, v6, 20, 11
	v_and_or_b32 v0, v5, s10, v0
	v_sub_u32_e32 v9, 0x3f1, v7
	v_or_b32_e32 v5, 0x1000, v0
	v_med3_i32 v9, v9, 0, 13
	v_lshrrev_b32_e32 v10, v9, v5
	v_lshlrev_b32_e32 v9, v9, v10
	v_mul_f16_sdwa v8, v75, v8 dst_sel:DWORD dst_unused:UNUSED_PAD src0_sel:WORD_1 src1_sel:DWORD
	v_cmp_ne_u32_e32 vcc, v9, v5
	v_fma_f16 v8, v75, v11, -v8
	v_cndmask_b32_e64 v5, 0, 1, vcc
	v_add_u32_e32 v9, 0xfffffc10, v7
	v_cvt_f32_f16_e32 v8, v8
	v_or_b32_e32 v5, v10, v5
	v_lshl_or_b32 v7, v9, 12, v0
	v_cmp_gt_i32_e32 vcc, 1, v9
	v_cndmask_b32_e32 v5, v7, v5, vcc
	v_and_b32_e32 v7, 7, v5
	v_cmp_lt_i32_e32 vcc, 5, v7
	v_cmp_eq_u32_e64 s[2:3], 3, v7
	v_cvt_f64_f32_e32 v[7:8], v8
	v_lshrrev_b32_e32 v5, 2, v5
	s_or_b64 vcc, s[2:3], vcc
	v_addc_co_u32_e32 v5, vcc, 0, v5, vcc
	v_mul_f64 v[7:8], v[7:8], s[12:13]
	v_cmp_gt_i32_e32 vcc, 31, v9
	v_cndmask_b32_e32 v5, v2, v5, vcc
	v_cmp_ne_u32_e32 vcc, 0, v0
	v_cndmask_b32_e64 v0, 0, 1, vcc
	v_lshl_or_b32 v0, v0, 9, v2
	v_cmp_eq_u32_e32 vcc, s11, v9
	v_cndmask_b32_e32 v0, v5, v0, vcc
	v_lshrrev_b32_e32 v5, 16, v6
	v_and_or_b32 v0, v5, s14, v0
	v_and_or_b32 v5, v8, s15, v7
	v_cmp_ne_u32_e32 vcc, 0, v5
	v_cndmask_b32_e64 v5, 0, 1, vcc
	v_lshrrev_b32_e32 v6, 8, v8
	v_and_or_b32 v7, v6, s10, v5
	v_bfe_u32 v6, v8, 20, 11
	v_sub_u32_e32 v9, 0x3f1, v6
	v_or_b32_e32 v5, 0x1000, v7
	v_med3_i32 v9, v9, 0, 13
	v_lshrrev_b32_e32 v10, v9, v5
	v_lshlrev_b32_e32 v9, v9, v10
	v_cmp_ne_u32_e32 vcc, v9, v5
	v_cndmask_b32_e64 v5, 0, 1, vcc
	v_add_u32_e32 v11, 0xfffffc10, v6
	v_or_b32_e32 v5, v10, v5
	v_lshl_or_b32 v6, v11, 12, v7
	v_cmp_gt_i32_e32 vcc, 1, v11
	v_cndmask_b32_e32 v5, v6, v5, vcc
	v_and_b32_e32 v6, 7, v5
	v_cmp_lt_i32_e32 vcc, 5, v6
	v_cmp_eq_u32_e64 s[2:3], 3, v6
	v_lshrrev_b32_e32 v9, 2, v5
	ds_read2_b32 v[5:6], v25 offset0:62 offset1:209
	s_or_b64 vcc, s[2:3], vcc
	v_addc_co_u32_e32 v9, vcc, 0, v9, vcc
	v_cmp_gt_i32_e32 vcc, 31, v11
	s_waitcnt lgkmcnt(0)
	v_lshrrev_b32_e32 v13, 16, v5
	v_cndmask_b32_e32 v12, v2, v9, vcc
	v_mul_f16_sdwa v9, v74, v13 dst_sel:DWORD dst_unused:UNUSED_PAD src0_sel:WORD_1 src1_sel:DWORD
	v_fma_f16 v9, v74, v5, v9
	v_cvt_f32_f16_e32 v9, v9
	v_cmp_ne_u32_e32 vcc, 0, v7
	v_cndmask_b32_e64 v7, 0, 1, vcc
	v_lshl_or_b32 v7, v7, 9, v2
	v_cvt_f64_f32_e32 v[9:10], v9
	v_cmp_eq_u32_e32 vcc, s11, v11
	v_cndmask_b32_e32 v7, v12, v7, vcc
	v_lshrrev_b32_e32 v8, 16, v8
	v_and_or_b32 v11, v8, s14, v7
	v_mul_f64 v[7:8], v[9:10], s[12:13]
	v_and_b32_e32 v0, 0xffff, v0
	v_add_co_u32_e32 v3, vcc, s6, v3
	v_lshl_or_b32 v0, v11, 16, v0
	v_addc_co_u32_e32 v4, vcc, v4, v1, vcc
	global_store_dword v[3:4], v0, off
	v_and_or_b32 v0, v8, s15, v7
	v_cmp_ne_u32_e32 vcc, 0, v0
	v_cndmask_b32_e64 v0, 0, 1, vcc
	v_lshrrev_b32_e32 v7, 8, v8
	v_bfe_u32 v9, v8, 20, 11
	v_and_or_b32 v0, v7, s10, v0
	v_sub_u32_e32 v10, 0x3f1, v9
	v_or_b32_e32 v7, 0x1000, v0
	v_med3_i32 v10, v10, 0, 13
	v_lshrrev_b32_e32 v11, v10, v7
	v_lshlrev_b32_e32 v10, v10, v11
	v_cmp_ne_u32_e32 vcc, v10, v7
	v_mul_f16_sdwa v5, v74, v5 dst_sel:DWORD dst_unused:UNUSED_PAD src0_sel:WORD_1 src1_sel:DWORD
	v_cndmask_b32_e64 v7, 0, 1, vcc
	v_fma_f16 v5, v74, v13, -v5
	v_or_b32_e32 v7, v11, v7
	v_add_u32_e32 v11, 0xfffffc10, v9
	v_cvt_f32_f16_e32 v5, v5
	v_lshl_or_b32 v9, v11, 12, v0
	v_cmp_gt_i32_e32 vcc, 1, v11
	v_cndmask_b32_e32 v7, v9, v7, vcc
	v_and_b32_e32 v9, 7, v7
	v_cmp_lt_i32_e32 vcc, 5, v9
	v_cmp_eq_u32_e64 s[2:3], 3, v9
	v_cvt_f64_f32_e32 v[9:10], v5
	v_lshrrev_b32_e32 v7, 2, v7
	s_or_b64 vcc, s[2:3], vcc
	v_addc_co_u32_e32 v5, vcc, 0, v7, vcc
	v_mul_f64 v[9:10], v[9:10], s[12:13]
	v_cmp_gt_i32_e32 vcc, 31, v11
	v_cndmask_b32_e32 v5, v2, v5, vcc
	v_cmp_ne_u32_e32 vcc, 0, v0
	v_cndmask_b32_e64 v0, 0, 1, vcc
	v_lshl_or_b32 v0, v0, 9, v2
	v_cmp_eq_u32_e32 vcc, s11, v11
	v_cndmask_b32_e32 v0, v5, v0, vcc
	v_lshrrev_b32_e32 v5, 16, v8
	v_and_or_b32 v0, v5, s14, v0
	v_and_or_b32 v5, v10, s15, v9
	v_cmp_ne_u32_e32 vcc, 0, v5
	v_cndmask_b32_e64 v5, 0, 1, vcc
	v_lshrrev_b32_e32 v7, 8, v10
	v_bfe_u32 v8, v10, 20, 11
	v_and_or_b32 v5, v7, s10, v5
	v_sub_u32_e32 v9, 0x3f1, v8
	v_or_b32_e32 v7, 0x1000, v5
	v_med3_i32 v9, v9, 0, 13
	v_lshrrev_b32_e32 v11, v9, v7
	v_lshlrev_b32_e32 v9, v9, v11
	v_cmp_ne_u32_e32 vcc, v9, v7
	v_cndmask_b32_e64 v7, 0, 1, vcc
	v_add_u32_e32 v9, 0xfffffc10, v8
	v_or_b32_e32 v7, v11, v7
	v_lshl_or_b32 v8, v9, 12, v5
	v_cmp_gt_i32_e32 vcc, 1, v9
	v_cndmask_b32_e32 v7, v8, v7, vcc
	v_and_b32_e32 v8, 7, v7
	v_cmp_lt_i32_e32 vcc, 5, v8
	v_cmp_eq_u32_e64 s[2:3], 3, v8
	v_lshrrev_b32_e32 v7, 2, v7
	s_or_b64 vcc, s[2:3], vcc
	v_addc_co_u32_e32 v7, vcc, 0, v7, vcc
	v_cmp_gt_i32_e32 vcc, 31, v9
	v_lshrrev_b32_e32 v12, 16, v6
	v_cndmask_b32_e32 v11, v2, v7, vcc
	v_mul_f16_sdwa v7, v73, v12 dst_sel:DWORD dst_unused:UNUSED_PAD src0_sel:WORD_1 src1_sel:DWORD
	v_fma_f16 v7, v73, v6, v7
	v_cvt_f32_f16_e32 v7, v7
	v_cmp_ne_u32_e32 vcc, 0, v5
	v_cndmask_b32_e64 v5, 0, 1, vcc
	v_lshl_or_b32 v5, v5, 9, v2
	v_cvt_f64_f32_e32 v[7:8], v7
	v_cmp_eq_u32_e32 vcc, s11, v9
	v_cndmask_b32_e32 v5, v11, v5, vcc
	v_lshrrev_b32_e32 v9, 16, v10
	v_mul_f64 v[7:8], v[7:8], s[12:13]
	v_and_or_b32 v5, v9, s14, v5
	v_and_b32_e32 v0, 0xffff, v0
	v_add_co_u32_e32 v3, vcc, s6, v3
	v_lshl_or_b32 v0, v5, 16, v0
	v_addc_co_u32_e32 v4, vcc, v4, v1, vcc
	global_store_dword v[3:4], v0, off
	v_and_or_b32 v0, v8, s15, v7
	v_cmp_ne_u32_e32 vcc, 0, v0
	v_cndmask_b32_e64 v0, 0, 1, vcc
	v_lshrrev_b32_e32 v5, 8, v8
	v_bfe_u32 v7, v8, 20, 11
	v_and_or_b32 v0, v5, s10, v0
	v_sub_u32_e32 v9, 0x3f1, v7
	v_or_b32_e32 v5, 0x1000, v0
	v_med3_i32 v9, v9, 0, 13
	v_lshrrev_b32_e32 v10, v9, v5
	v_lshlrev_b32_e32 v9, v9, v10
	v_mul_f16_sdwa v6, v73, v6 dst_sel:DWORD dst_unused:UNUSED_PAD src0_sel:WORD_1 src1_sel:DWORD
	v_cmp_ne_u32_e32 vcc, v9, v5
	v_fma_f16 v6, v73, v12, -v6
	v_cndmask_b32_e64 v5, 0, 1, vcc
	v_add_u32_e32 v7, 0xfffffc10, v7
	v_cvt_f32_f16_e32 v6, v6
	v_or_b32_e32 v5, v10, v5
	v_lshl_or_b32 v9, v7, 12, v0
	v_cmp_gt_i32_e32 vcc, 1, v7
	v_cndmask_b32_e32 v5, v9, v5, vcc
	v_and_b32_e32 v9, 7, v5
	v_cmp_lt_i32_e32 vcc, 5, v9
	v_cmp_eq_u32_e64 s[2:3], 3, v9
	v_lshrrev_b32_e32 v9, 2, v5
	v_cvt_f64_f32_e32 v[5:6], v6
	s_or_b64 vcc, s[2:3], vcc
	v_addc_co_u32_e32 v9, vcc, 0, v9, vcc
	v_mul_f64 v[5:6], v[5:6], s[12:13]
	v_cmp_gt_i32_e32 vcc, 31, v7
	v_cndmask_b32_e32 v9, v2, v9, vcc
	v_cmp_ne_u32_e32 vcc, 0, v0
	v_cndmask_b32_e64 v0, 0, 1, vcc
	v_lshl_or_b32 v0, v0, 9, v2
	v_cmp_eq_u32_e32 vcc, s11, v7
	v_cndmask_b32_e32 v0, v9, v0, vcc
	v_and_or_b32 v5, v6, s15, v5
	v_lshrrev_b32_e32 v7, 16, v8
	v_cmp_ne_u32_e32 vcc, 0, v5
	v_and_or_b32 v0, v7, s14, v0
	v_cndmask_b32_e64 v5, 0, 1, vcc
	v_lshrrev_b32_e32 v7, 8, v6
	v_bfe_u32 v8, v6, 20, 11
	v_and_or_b32 v5, v7, s10, v5
	v_sub_u32_e32 v9, 0x3f1, v8
	v_or_b32_e32 v7, 0x1000, v5
	v_med3_i32 v9, v9, 0, 13
	v_lshrrev_b32_e32 v10, v9, v7
	v_lshlrev_b32_e32 v9, v9, v10
	v_cmp_ne_u32_e32 vcc, v9, v7
	v_cndmask_b32_e64 v7, 0, 1, vcc
	v_add_u32_e32 v9, 0xfffffc10, v8
	v_or_b32_e32 v7, v10, v7
	v_lshl_or_b32 v8, v9, 12, v5
	v_cmp_gt_i32_e32 vcc, 1, v9
	v_cndmask_b32_e32 v7, v8, v7, vcc
	ds_read_b32 v10, v71 offset:7056
	v_and_b32_e32 v8, 7, v7
	v_cmp_lt_i32_e32 vcc, 5, v8
	v_cmp_eq_u32_e64 s[2:3], 3, v8
	v_lshrrev_b32_e32 v7, 2, v7
	s_or_b64 vcc, s[2:3], vcc
	v_addc_co_u32_e32 v7, vcc, 0, v7, vcc
	v_cmp_gt_i32_e32 vcc, 31, v9
	s_waitcnt lgkmcnt(0)
	v_lshrrev_b32_e32 v12, 16, v10
	v_cndmask_b32_e32 v11, v2, v7, vcc
	v_mul_f16_sdwa v7, v72, v12 dst_sel:DWORD dst_unused:UNUSED_PAD src0_sel:WORD_1 src1_sel:DWORD
	v_fma_f16 v7, v72, v10, v7
	v_cvt_f32_f16_e32 v7, v7
	v_cmp_ne_u32_e32 vcc, 0, v5
	v_cndmask_b32_e64 v5, 0, 1, vcc
	v_lshl_or_b32 v5, v5, 9, v2
	v_cvt_f64_f32_e32 v[7:8], v7
	v_cmp_eq_u32_e32 vcc, s11, v9
	v_cndmask_b32_e32 v5, v11, v5, vcc
	v_lshrrev_b32_e32 v6, 16, v6
	v_and_or_b32 v9, v6, s14, v5
	v_mul_f64 v[5:6], v[7:8], s[12:13]
	v_and_b32_e32 v0, 0xffff, v0
	v_add_co_u32_e32 v3, vcc, s6, v3
	v_lshl_or_b32 v0, v9, 16, v0
	v_addc_co_u32_e32 v4, vcc, v4, v1, vcc
	global_store_dword v[3:4], v0, off
	v_and_or_b32 v0, v6, s15, v5
	v_cmp_ne_u32_e32 vcc, 0, v0
	v_cndmask_b32_e64 v0, 0, 1, vcc
	v_lshrrev_b32_e32 v5, 8, v6
	v_bfe_u32 v7, v6, 20, 11
	v_and_or_b32 v0, v5, s10, v0
	v_sub_u32_e32 v8, 0x3f1, v7
	v_or_b32_e32 v5, 0x1000, v0
	v_med3_i32 v8, v8, 0, 13
	v_lshrrev_b32_e32 v9, v8, v5
	v_lshlrev_b32_e32 v8, v8, v9
	v_cmp_ne_u32_e32 vcc, v8, v5
	v_mul_f16_sdwa v8, v72, v10 dst_sel:DWORD dst_unused:UNUSED_PAD src0_sel:WORD_1 src1_sel:DWORD
	v_cndmask_b32_e64 v5, 0, 1, vcc
	v_fma_f16 v8, v72, v12, -v8
	v_or_b32_e32 v5, v9, v5
	v_add_u32_e32 v9, 0xfffffc10, v7
	v_cvt_f32_f16_e32 v8, v8
	v_lshl_or_b32 v7, v9, 12, v0
	v_cmp_gt_i32_e32 vcc, 1, v9
	v_cndmask_b32_e32 v5, v7, v5, vcc
	v_and_b32_e32 v7, 7, v5
	v_cmp_lt_i32_e32 vcc, 5, v7
	v_cmp_eq_u32_e64 s[2:3], 3, v7
	v_cvt_f64_f32_e32 v[7:8], v8
	v_lshrrev_b32_e32 v5, 2, v5
	s_or_b64 vcc, s[2:3], vcc
	v_addc_co_u32_e32 v5, vcc, 0, v5, vcc
	v_mul_f64 v[7:8], v[7:8], s[12:13]
	v_cmp_gt_i32_e32 vcc, 31, v9
	v_cndmask_b32_e32 v5, v2, v5, vcc
	v_cmp_ne_u32_e32 vcc, 0, v0
	v_cndmask_b32_e64 v0, 0, 1, vcc
	v_lshl_or_b32 v0, v0, 9, v2
	v_cmp_eq_u32_e32 vcc, s11, v9
	v_cndmask_b32_e32 v0, v5, v0, vcc
	v_lshrrev_b32_e32 v5, 16, v6
	v_and_or_b32 v0, v5, s14, v0
	v_and_or_b32 v5, v8, s15, v7
	v_cmp_ne_u32_e32 vcc, 0, v5
	v_cndmask_b32_e64 v5, 0, 1, vcc
	v_lshrrev_b32_e32 v6, 8, v8
	v_bfe_u32 v7, v8, 20, 11
	v_and_or_b32 v5, v6, s10, v5
	v_sub_u32_e32 v9, 0x3f1, v7
	v_or_b32_e32 v6, 0x1000, v5
	v_med3_i32 v9, v9, 0, 13
	v_lshrrev_b32_e32 v10, v9, v6
	v_lshlrev_b32_e32 v9, v9, v10
	v_cmp_ne_u32_e32 vcc, v9, v6
	v_cndmask_b32_e64 v6, 0, 1, vcc
	v_add_u32_e32 v7, 0xfffffc10, v7
	v_or_b32_e32 v6, v10, v6
	v_lshl_or_b32 v9, v7, 12, v5
	v_cmp_gt_i32_e32 vcc, 1, v7
	v_cndmask_b32_e32 v6, v9, v6, vcc
	v_and_b32_e32 v9, 7, v6
	v_cmp_lt_i32_e32 vcc, 5, v9
	v_cmp_eq_u32_e64 s[2:3], 3, v9
	v_lshrrev_b32_e32 v6, 2, v6
	s_or_b64 vcc, s[2:3], vcc
	v_addc_co_u32_e32 v6, vcc, 0, v6, vcc
	v_cmp_gt_i32_e32 vcc, 31, v7
	v_cndmask_b32_e32 v6, v2, v6, vcc
	v_cmp_ne_u32_e32 vcc, 0, v5
	v_cndmask_b32_e64 v5, 0, 1, vcc
	v_lshl_or_b32 v5, v5, 9, v2
	v_cmp_eq_u32_e32 vcc, s11, v7
	v_cndmask_b32_e32 v5, v6, v5, vcc
	v_lshrrev_b32_e32 v6, 16, v8
	v_and_or_b32 v5, v6, s14, v5
	v_and_b32_e32 v0, 0xffff, v0
	v_lshl_or_b32 v5, v5, 16, v0
	v_add_co_u32_e32 v0, vcc, s6, v3
	v_addc_co_u32_e32 v1, vcc, v4, v1, vcc
	global_store_dword v[0:1], v5, off
	s_and_b64 exec, exec, s[0:1]
	s_cbranch_execz .LBB0_15
; %bb.14:
	global_load_dword v5, v[20:21], off offset:364
	ds_read2_b32 v[3:4], v71 offset0:91 offset1:238
	s_waitcnt lgkmcnt(0)
	v_lshrrev_b32_e32 v6, 16, v3
	s_waitcnt vmcnt(0)
	v_mul_f16_sdwa v7, v6, v5 dst_sel:DWORD dst_unused:UNUSED_PAD src0_sel:DWORD src1_sel:WORD_1
	v_fma_f16 v7, v3, v5, v7
	v_mul_f16_sdwa v3, v3, v5 dst_sel:DWORD dst_unused:UNUSED_PAD src0_sel:DWORD src1_sel:WORD_1
	v_cvt_f32_f16_e32 v7, v7
	v_fma_f16 v3, v5, v6, -v3
	v_cvt_f32_f16_e32 v3, v3
	v_cvt_f64_f32_e32 v[5:6], v7
	v_cvt_f64_f32_e32 v[7:8], v3
	v_mov_b32_e32 v3, 0xffffe5dc
	v_mul_f64 v[5:6], v[5:6], s[12:13]
	v_mad_u64_u32 v[0:1], s[0:1], s8, v3, v[0:1]
	v_mul_f64 v[7:8], v[7:8], s[12:13]
	s_mul_i32 s0, s9, 0xffffe5dc
	s_sub_i32 s0, s0, s8
	v_add_u32_e32 v1, s0, v1
	v_and_or_b32 v3, v6, s15, v5
	v_cmp_ne_u32_e32 vcc, 0, v3
	v_lshrrev_b32_e32 v5, 8, v6
	v_and_or_b32 v7, v8, s15, v7
	v_bfe_u32 v9, v6, 20, 11
	v_cndmask_b32_e64 v3, 0, 1, vcc
	v_cmp_ne_u32_e32 vcc, 0, v7
	v_lshrrev_b32_e32 v10, 8, v8
	v_bfe_u32 v11, v8, 20, 11
	v_sub_u32_e32 v12, 0x3f1, v9
	v_cndmask_b32_e64 v7, 0, 1, vcc
	v_and_or_b32 v3, v5, s10, v3
	v_sub_u32_e32 v13, 0x3f1, v11
	v_med3_i32 v5, v12, 0, 13
	v_and_or_b32 v7, v10, s10, v7
	v_or_b32_e32 v12, 0x1000, v3
	v_add_u32_e32 v9, 0xfffffc10, v9
	v_med3_i32 v10, v13, 0, 13
	v_cmp_ne_u32_e32 vcc, 0, v3
	v_or_b32_e32 v14, 0x1000, v7
	v_lshrrev_b32_e32 v16, v5, v12
	v_add_u32_e32 v11, 0xfffffc10, v11
	v_lshl_or_b32 v13, v9, 12, v3
	v_cndmask_b32_e64 v3, 0, 1, vcc
	v_cmp_ne_u32_e32 vcc, 0, v7
	v_lshrrev_b32_e32 v17, v10, v14
	v_lshlrev_b32_e32 v5, v5, v16
	v_lshl_or_b32 v15, v11, 12, v7
	v_cndmask_b32_e64 v7, 0, 1, vcc
	v_lshlrev_b32_e32 v10, v10, v17
	v_cmp_ne_u32_e32 vcc, v5, v12
	v_cndmask_b32_e64 v5, 0, 1, vcc
	v_cmp_ne_u32_e32 vcc, v10, v14
	v_cndmask_b32_e64 v10, 0, 1, vcc
	v_or_b32_e32 v5, v16, v5
	v_cmp_gt_i32_e32 vcc, 1, v9
	v_cndmask_b32_e32 v5, v13, v5, vcc
	v_or_b32_e32 v10, v17, v10
	v_cmp_gt_i32_e32 vcc, 1, v11
	v_and_b32_e32 v12, 7, v5
	v_cndmask_b32_e32 v10, v15, v10, vcc
	v_cmp_lt_i32_e32 vcc, 5, v12
	v_cmp_eq_u32_e64 s[0:1], 3, v12
	v_lshrrev_b32_e32 v5, 2, v5
	v_and_b32_e32 v13, 7, v10
	s_or_b64 vcc, s[0:1], vcc
	v_cmp_lt_i32_e64 s[2:3], 5, v13
	v_cmp_eq_u32_e64 s[4:5], 3, v13
	v_addc_co_u32_e32 v5, vcc, 0, v5, vcc
	v_lshrrev_b32_e32 v10, 2, v10
	s_or_b64 vcc, s[4:5], s[2:3]
	v_addc_co_u32_e32 v10, vcc, 0, v10, vcc
	v_cmp_gt_i32_e32 vcc, 31, v9
	v_cndmask_b32_e32 v5, v2, v5, vcc
	v_cmp_gt_i32_e32 vcc, 31, v11
	v_lshl_or_b32 v3, v3, 9, v2
	v_cndmask_b32_e32 v10, v2, v10, vcc
	v_cmp_eq_u32_e32 vcc, s11, v9
	v_lshrrev_b32_e32 v6, 16, v6
	v_lshl_or_b32 v7, v7, 9, v2
	v_cndmask_b32_e32 v3, v5, v3, vcc
	v_cmp_eq_u32_e32 vcc, s11, v11
	v_lshrrev_b32_e32 v8, 16, v8
	v_cndmask_b32_e32 v5, v10, v7, vcc
	v_and_or_b32 v3, v6, s14, v3
	v_and_or_b32 v5, v8, s14, v5
	v_and_b32_e32 v3, 0xffff, v3
	v_lshl_or_b32 v3, v5, 16, v3
	global_store_dword v[0:1], v3, off
	global_load_dword v3, v[20:21], off offset:952
	v_lshrrev_b32_e32 v5, 16, v4
	v_add_co_u32_e32 v0, vcc, s6, v0
	s_waitcnt vmcnt(0)
	v_mul_f16_sdwa v6, v5, v3 dst_sel:DWORD dst_unused:UNUSED_PAD src0_sel:DWORD src1_sel:WORD_1
	v_fma_f16 v6, v4, v3, v6
	v_mul_f16_sdwa v4, v4, v3 dst_sel:DWORD dst_unused:UNUSED_PAD src0_sel:DWORD src1_sel:WORD_1
	v_cvt_f32_f16_e32 v6, v6
	v_fma_f16 v3, v3, v5, -v4
	v_cvt_f32_f16_e32 v5, v3
	v_cvt_f64_f32_e32 v[3:4], v6
	v_cvt_f64_f32_e32 v[5:6], v5
	v_mul_f64 v[7:8], v[3:4], s[12:13]
	v_mov_b32_e32 v3, s7
	v_mul_f64 v[4:5], v[5:6], s[12:13]
	v_addc_co_u32_e32 v1, vcc, v1, v3, vcc
	v_and_or_b32 v6, v8, s15, v7
	v_cmp_ne_u32_e32 vcc, 0, v6
	v_and_or_b32 v4, v5, s15, v4
	v_lshrrev_b32_e32 v7, 8, v8
	v_bfe_u32 v9, v8, 20, 11
	v_cndmask_b32_e64 v6, 0, 1, vcc
	v_cmp_ne_u32_e32 vcc, 0, v4
	v_lshrrev_b32_e32 v10, 8, v5
	v_bfe_u32 v11, v5, 20, 11
	v_sub_u32_e32 v12, 0x3f1, v9
	v_cndmask_b32_e64 v4, 0, 1, vcc
	v_and_or_b32 v6, v7, s10, v6
	v_sub_u32_e32 v13, 0x3f1, v11
	v_med3_i32 v7, v12, 0, 13
	v_and_or_b32 v4, v10, s10, v4
	v_or_b32_e32 v12, 0x1000, v6
	v_add_u32_e32 v9, 0xfffffc10, v9
	v_med3_i32 v10, v13, 0, 13
	v_cmp_ne_u32_e32 vcc, 0, v6
	v_or_b32_e32 v14, 0x1000, v4
	v_lshrrev_b32_e32 v16, v7, v12
	v_add_u32_e32 v11, 0xfffffc10, v11
	v_lshl_or_b32 v13, v9, 12, v6
	v_cndmask_b32_e64 v6, 0, 1, vcc
	v_cmp_ne_u32_e32 vcc, 0, v4
	v_lshrrev_b32_e32 v17, v10, v14
	v_lshlrev_b32_e32 v7, v7, v16
	v_lshl_or_b32 v15, v11, 12, v4
	v_cndmask_b32_e64 v4, 0, 1, vcc
	v_lshlrev_b32_e32 v10, v10, v17
	v_cmp_ne_u32_e32 vcc, v7, v12
	v_cndmask_b32_e64 v7, 0, 1, vcc
	v_cmp_ne_u32_e32 vcc, v10, v14
	v_cndmask_b32_e64 v10, 0, 1, vcc
	v_or_b32_e32 v7, v16, v7
	v_cmp_gt_i32_e32 vcc, 1, v9
	v_cndmask_b32_e32 v7, v13, v7, vcc
	v_or_b32_e32 v10, v17, v10
	v_cmp_gt_i32_e32 vcc, 1, v11
	v_and_b32_e32 v12, 7, v7
	v_cndmask_b32_e32 v10, v15, v10, vcc
	v_cmp_lt_i32_e32 vcc, 5, v12
	v_cmp_eq_u32_e64 s[0:1], 3, v12
	v_lshrrev_b32_e32 v7, 2, v7
	v_and_b32_e32 v13, 7, v10
	s_or_b64 vcc, s[0:1], vcc
	v_cmp_lt_i32_e64 s[2:3], 5, v13
	v_cmp_eq_u32_e64 s[4:5], 3, v13
	v_addc_co_u32_e32 v7, vcc, 0, v7, vcc
	v_lshrrev_b32_e32 v10, 2, v10
	s_or_b64 vcc, s[4:5], s[2:3]
	v_addc_co_u32_e32 v10, vcc, 0, v10, vcc
	v_cmp_gt_i32_e32 vcc, 31, v9
	v_cndmask_b32_e32 v7, v2, v7, vcc
	v_cmp_gt_i32_e32 vcc, 31, v11
	v_lshl_or_b32 v6, v6, 9, v2
	v_cndmask_b32_e32 v10, v2, v10, vcc
	v_cmp_eq_u32_e32 vcc, s11, v9
	v_lshrrev_b32_e32 v8, 16, v8
	v_lshl_or_b32 v4, v4, 9, v2
	v_cndmask_b32_e32 v6, v7, v6, vcc
	v_cmp_eq_u32_e32 vcc, s11, v11
	v_lshrrev_b32_e32 v5, 16, v5
	v_cndmask_b32_e32 v4, v10, v4, vcc
	v_and_or_b32 v6, v8, s14, v6
	v_and_or_b32 v4, v5, s14, v4
	v_and_b32_e32 v5, 0xffff, v6
	v_lshl_or_b32 v4, v4, 16, v5
	global_store_dword v[0:1], v4, off
	global_load_dword v6, v[20:21], off offset:1540
	v_add_u32_e32 v4, 0x600, v71
	ds_read2_b32 v[4:5], v4 offset0:1 offset1:148
	v_add_co_u32_e32 v0, vcc, s6, v0
	v_addc_co_u32_e32 v1, vcc, v1, v3, vcc
	s_waitcnt lgkmcnt(0)
	v_lshrrev_b32_e32 v7, 16, v4
	s_waitcnt vmcnt(0)
	v_mul_f16_sdwa v8, v7, v6 dst_sel:DWORD dst_unused:UNUSED_PAD src0_sel:DWORD src1_sel:WORD_1
	v_fma_f16 v8, v4, v6, v8
	v_mul_f16_sdwa v4, v4, v6 dst_sel:DWORD dst_unused:UNUSED_PAD src0_sel:DWORD src1_sel:WORD_1
	v_cvt_f32_f16_e32 v8, v8
	v_fma_f16 v4, v6, v7, -v4
	v_cvt_f32_f16_e32 v4, v4
	v_cvt_f64_f32_e32 v[6:7], v8
	v_cvt_f64_f32_e32 v[8:9], v4
	v_mul_f64 v[6:7], v[6:7], s[12:13]
	v_mul_f64 v[8:9], v[8:9], s[12:13]
	v_and_or_b32 v4, v7, s15, v6
	v_cmp_ne_u32_e32 vcc, 0, v4
	v_and_or_b32 v8, v9, s15, v8
	v_lshrrev_b32_e32 v6, 8, v7
	v_bfe_u32 v10, v7, 20, 11
	v_cndmask_b32_e64 v4, 0, 1, vcc
	v_cmp_ne_u32_e32 vcc, 0, v8
	v_lshrrev_b32_e32 v11, 8, v9
	v_bfe_u32 v12, v9, 20, 11
	v_sub_u32_e32 v13, 0x3f1, v10
	v_cndmask_b32_e64 v8, 0, 1, vcc
	v_and_or_b32 v4, v6, s10, v4
	v_sub_u32_e32 v14, 0x3f1, v12
	v_med3_i32 v6, v13, 0, 13
	v_and_or_b32 v8, v11, s10, v8
	v_or_b32_e32 v13, 0x1000, v4
	v_add_u32_e32 v10, 0xfffffc10, v10
	v_med3_i32 v11, v14, 0, 13
	v_cmp_ne_u32_e32 vcc, 0, v4
	v_or_b32_e32 v15, 0x1000, v8
	v_lshrrev_b32_e32 v17, v6, v13
	v_add_u32_e32 v12, 0xfffffc10, v12
	v_lshl_or_b32 v14, v10, 12, v4
	v_cndmask_b32_e64 v4, 0, 1, vcc
	v_cmp_ne_u32_e32 vcc, 0, v8
	v_lshrrev_b32_e32 v18, v11, v15
	v_lshlrev_b32_e32 v6, v6, v17
	v_lshl_or_b32 v16, v12, 12, v8
	v_cndmask_b32_e64 v8, 0, 1, vcc
	v_lshlrev_b32_e32 v11, v11, v18
	v_cmp_ne_u32_e32 vcc, v6, v13
	v_cndmask_b32_e64 v6, 0, 1, vcc
	v_cmp_ne_u32_e32 vcc, v11, v15
	v_cndmask_b32_e64 v11, 0, 1, vcc
	v_or_b32_e32 v6, v17, v6
	v_cmp_gt_i32_e32 vcc, 1, v10
	v_cndmask_b32_e32 v6, v14, v6, vcc
	v_or_b32_e32 v11, v18, v11
	v_cmp_gt_i32_e32 vcc, 1, v12
	v_and_b32_e32 v13, 7, v6
	v_cndmask_b32_e32 v11, v16, v11, vcc
	v_cmp_lt_i32_e32 vcc, 5, v13
	v_cmp_eq_u32_e64 s[0:1], 3, v13
	v_lshrrev_b32_e32 v6, 2, v6
	v_and_b32_e32 v14, 7, v11
	s_or_b64 vcc, s[0:1], vcc
	v_cmp_lt_i32_e64 s[2:3], 5, v14
	v_cmp_eq_u32_e64 s[4:5], 3, v14
	v_addc_co_u32_e32 v6, vcc, 0, v6, vcc
	v_lshrrev_b32_e32 v11, 2, v11
	s_or_b64 vcc, s[4:5], s[2:3]
	v_addc_co_u32_e32 v11, vcc, 0, v11, vcc
	v_cmp_gt_i32_e32 vcc, 31, v10
	v_cndmask_b32_e32 v6, v2, v6, vcc
	v_cmp_gt_i32_e32 vcc, 31, v12
	v_lshl_or_b32 v4, v4, 9, v2
	v_cndmask_b32_e32 v11, v2, v11, vcc
	v_cmp_eq_u32_e32 vcc, s11, v10
	v_lshrrev_b32_e32 v7, 16, v7
	v_lshl_or_b32 v8, v8, 9, v2
	v_cndmask_b32_e32 v4, v6, v4, vcc
	v_cmp_eq_u32_e32 vcc, s11, v12
	v_lshrrev_b32_e32 v9, 16, v9
	v_cndmask_b32_e32 v6, v11, v8, vcc
	v_and_or_b32 v4, v7, s14, v4
	v_and_or_b32 v6, v9, s14, v6
	v_and_b32_e32 v4, 0xffff, v4
	v_lshl_or_b32 v4, v6, 16, v4
	global_store_dword v[0:1], v4, off
	global_load_dword v4, v[20:21], off offset:2128
	v_lshrrev_b32_e32 v6, 16, v5
	v_add_co_u32_e32 v0, vcc, s6, v0
	v_addc_co_u32_e32 v1, vcc, v1, v3, vcc
	s_waitcnt vmcnt(0)
	v_mul_f16_sdwa v7, v6, v4 dst_sel:DWORD dst_unused:UNUSED_PAD src0_sel:DWORD src1_sel:WORD_1
	v_fma_f16 v7, v5, v4, v7
	v_mul_f16_sdwa v5, v5, v4 dst_sel:DWORD dst_unused:UNUSED_PAD src0_sel:DWORD src1_sel:WORD_1
	v_cvt_f32_f16_e32 v7, v7
	v_fma_f16 v4, v4, v6, -v5
	v_cvt_f32_f16_e32 v6, v4
	v_cvt_f64_f32_e32 v[4:5], v7
	v_cvt_f64_f32_e32 v[6:7], v6
	v_mul_f64 v[4:5], v[4:5], s[12:13]
	v_mul_f64 v[6:7], v[6:7], s[12:13]
	v_and_or_b32 v4, v5, s15, v4
	v_cmp_ne_u32_e32 vcc, 0, v4
	v_and_or_b32 v6, v7, s15, v6
	v_lshrrev_b32_e32 v8, 8, v5
	v_bfe_u32 v9, v5, 20, 11
	v_cndmask_b32_e64 v4, 0, 1, vcc
	v_cmp_ne_u32_e32 vcc, 0, v6
	v_lshrrev_b32_e32 v10, 8, v7
	v_bfe_u32 v11, v7, 20, 11
	v_sub_u32_e32 v12, 0x3f1, v9
	v_cndmask_b32_e64 v6, 0, 1, vcc
	v_and_or_b32 v4, v8, s10, v4
	v_sub_u32_e32 v13, 0x3f1, v11
	v_med3_i32 v8, v12, 0, 13
	v_and_or_b32 v6, v10, s10, v6
	v_or_b32_e32 v12, 0x1000, v4
	v_add_u32_e32 v9, 0xfffffc10, v9
	v_med3_i32 v10, v13, 0, 13
	v_cmp_ne_u32_e32 vcc, 0, v4
	v_or_b32_e32 v14, 0x1000, v6
	v_lshrrev_b32_e32 v16, v8, v12
	v_add_u32_e32 v11, 0xfffffc10, v11
	v_lshl_or_b32 v13, v9, 12, v4
	v_cndmask_b32_e64 v4, 0, 1, vcc
	v_cmp_ne_u32_e32 vcc, 0, v6
	v_lshrrev_b32_e32 v17, v10, v14
	v_lshlrev_b32_e32 v8, v8, v16
	v_lshl_or_b32 v15, v11, 12, v6
	v_cndmask_b32_e64 v6, 0, 1, vcc
	v_lshlrev_b32_e32 v10, v10, v17
	v_cmp_ne_u32_e32 vcc, v8, v12
	v_cndmask_b32_e64 v8, 0, 1, vcc
	v_cmp_ne_u32_e32 vcc, v10, v14
	v_cndmask_b32_e64 v10, 0, 1, vcc
	v_or_b32_e32 v8, v16, v8
	v_cmp_gt_i32_e32 vcc, 1, v9
	v_cndmask_b32_e32 v8, v13, v8, vcc
	v_or_b32_e32 v10, v17, v10
	v_cmp_gt_i32_e32 vcc, 1, v11
	v_and_b32_e32 v12, 7, v8
	v_cndmask_b32_e32 v10, v15, v10, vcc
	v_cmp_lt_i32_e32 vcc, 5, v12
	v_cmp_eq_u32_e64 s[0:1], 3, v12
	v_lshrrev_b32_e32 v8, 2, v8
	v_and_b32_e32 v13, 7, v10
	s_or_b64 vcc, s[0:1], vcc
	v_cmp_lt_i32_e64 s[2:3], 5, v13
	v_cmp_eq_u32_e64 s[4:5], 3, v13
	v_addc_co_u32_e32 v8, vcc, 0, v8, vcc
	v_lshrrev_b32_e32 v10, 2, v10
	s_or_b64 vcc, s[4:5], s[2:3]
	v_addc_co_u32_e32 v10, vcc, 0, v10, vcc
	v_cmp_gt_i32_e32 vcc, 31, v9
	v_cndmask_b32_e32 v8, v2, v8, vcc
	v_cmp_gt_i32_e32 vcc, 31, v11
	v_lshl_or_b32 v4, v4, 9, v2
	v_cndmask_b32_e32 v10, v2, v10, vcc
	v_cmp_eq_u32_e32 vcc, s11, v9
	v_lshrrev_b32_e32 v5, 16, v5
	v_lshl_or_b32 v6, v6, 9, v2
	v_cndmask_b32_e32 v4, v8, v4, vcc
	v_cmp_eq_u32_e32 vcc, s11, v11
	v_lshrrev_b32_e32 v7, 16, v7
	v_cndmask_b32_e32 v6, v10, v6, vcc
	v_and_or_b32 v4, v5, s14, v4
	v_and_or_b32 v5, v7, s14, v6
	v_and_b32_e32 v4, 0xffff, v4
	v_lshl_or_b32 v4, v5, 16, v4
	global_store_dword v[0:1], v4, off
	global_load_dword v6, v[20:21], off offset:2716
	ds_read2_b32 v[4:5], v24 offset0:39 offset1:186
	v_add_co_u32_e32 v0, vcc, s6, v0
	v_addc_co_u32_e32 v1, vcc, v1, v3, vcc
	s_waitcnt lgkmcnt(0)
	v_lshrrev_b32_e32 v7, 16, v4
	s_waitcnt vmcnt(0)
	v_mul_f16_sdwa v8, v7, v6 dst_sel:DWORD dst_unused:UNUSED_PAD src0_sel:DWORD src1_sel:WORD_1
	v_fma_f16 v8, v4, v6, v8
	v_mul_f16_sdwa v4, v4, v6 dst_sel:DWORD dst_unused:UNUSED_PAD src0_sel:DWORD src1_sel:WORD_1
	v_cvt_f32_f16_e32 v8, v8
	v_fma_f16 v4, v6, v7, -v4
	v_cvt_f32_f16_e32 v4, v4
	v_cvt_f64_f32_e32 v[6:7], v8
	v_cvt_f64_f32_e32 v[8:9], v4
	v_mul_f64 v[6:7], v[6:7], s[12:13]
	v_mul_f64 v[8:9], v[8:9], s[12:13]
	v_and_or_b32 v4, v7, s15, v6
	v_cmp_ne_u32_e32 vcc, 0, v4
	v_and_or_b32 v8, v9, s15, v8
	v_lshrrev_b32_e32 v6, 8, v7
	v_bfe_u32 v10, v7, 20, 11
	v_cndmask_b32_e64 v4, 0, 1, vcc
	v_cmp_ne_u32_e32 vcc, 0, v8
	v_lshrrev_b32_e32 v11, 8, v9
	v_bfe_u32 v12, v9, 20, 11
	v_sub_u32_e32 v13, 0x3f1, v10
	v_cndmask_b32_e64 v8, 0, 1, vcc
	v_and_or_b32 v4, v6, s10, v4
	v_sub_u32_e32 v14, 0x3f1, v12
	v_med3_i32 v6, v13, 0, 13
	v_and_or_b32 v8, v11, s10, v8
	v_or_b32_e32 v13, 0x1000, v4
	v_add_u32_e32 v10, 0xfffffc10, v10
	v_med3_i32 v11, v14, 0, 13
	v_cmp_ne_u32_e32 vcc, 0, v4
	v_or_b32_e32 v15, 0x1000, v8
	v_lshrrev_b32_e32 v17, v6, v13
	v_add_u32_e32 v12, 0xfffffc10, v12
	v_lshl_or_b32 v14, v10, 12, v4
	v_cndmask_b32_e64 v4, 0, 1, vcc
	v_cmp_ne_u32_e32 vcc, 0, v8
	v_lshrrev_b32_e32 v18, v11, v15
	v_lshlrev_b32_e32 v6, v6, v17
	v_lshl_or_b32 v16, v12, 12, v8
	v_cndmask_b32_e64 v8, 0, 1, vcc
	v_lshlrev_b32_e32 v11, v11, v18
	v_cmp_ne_u32_e32 vcc, v6, v13
	v_cndmask_b32_e64 v6, 0, 1, vcc
	v_cmp_ne_u32_e32 vcc, v11, v15
	v_cndmask_b32_e64 v11, 0, 1, vcc
	v_or_b32_e32 v6, v17, v6
	v_cmp_gt_i32_e32 vcc, 1, v10
	v_cndmask_b32_e32 v6, v14, v6, vcc
	v_or_b32_e32 v11, v18, v11
	v_cmp_gt_i32_e32 vcc, 1, v12
	v_and_b32_e32 v13, 7, v6
	v_cndmask_b32_e32 v11, v16, v11, vcc
	v_cmp_lt_i32_e32 vcc, 5, v13
	v_cmp_eq_u32_e64 s[0:1], 3, v13
	v_lshrrev_b32_e32 v6, 2, v6
	v_and_b32_e32 v14, 7, v11
	s_or_b64 vcc, s[0:1], vcc
	v_cmp_lt_i32_e64 s[2:3], 5, v14
	v_cmp_eq_u32_e64 s[4:5], 3, v14
	v_addc_co_u32_e32 v6, vcc, 0, v6, vcc
	v_lshrrev_b32_e32 v11, 2, v11
	s_or_b64 vcc, s[4:5], s[2:3]
	v_addc_co_u32_e32 v11, vcc, 0, v11, vcc
	v_cmp_gt_i32_e32 vcc, 31, v10
	v_cndmask_b32_e32 v6, v2, v6, vcc
	v_cmp_gt_i32_e32 vcc, 31, v12
	v_lshl_or_b32 v4, v4, 9, v2
	v_cndmask_b32_e32 v11, v2, v11, vcc
	v_cmp_eq_u32_e32 vcc, s11, v10
	v_lshrrev_b32_e32 v7, 16, v7
	v_lshl_or_b32 v8, v8, 9, v2
	v_cndmask_b32_e32 v4, v6, v4, vcc
	v_cmp_eq_u32_e32 vcc, s11, v12
	v_lshrrev_b32_e32 v9, 16, v9
	v_cndmask_b32_e32 v6, v11, v8, vcc
	v_and_or_b32 v4, v7, s14, v4
	v_and_or_b32 v6, v9, s14, v6
	v_and_b32_e32 v4, 0xffff, v4
	v_lshl_or_b32 v4, v6, 16, v4
	global_store_dword v[0:1], v4, off
	global_load_dword v4, v[20:21], off offset:3304
	v_lshrrev_b32_e32 v6, 16, v5
	v_add_co_u32_e32 v8, vcc, s6, v0
	v_addc_co_u32_e32 v9, vcc, v1, v3, vcc
	s_waitcnt vmcnt(0)
	v_mul_f16_sdwa v7, v6, v4 dst_sel:DWORD dst_unused:UNUSED_PAD src0_sel:DWORD src1_sel:WORD_1
	v_fma_f16 v7, v5, v4, v7
	v_mul_f16_sdwa v5, v5, v4 dst_sel:DWORD dst_unused:UNUSED_PAD src0_sel:DWORD src1_sel:WORD_1
	v_cvt_f32_f16_e32 v7, v7
	v_fma_f16 v4, v4, v6, -v5
	v_cvt_f32_f16_e32 v6, v4
	v_cvt_f64_f32_e32 v[4:5], v7
	v_cvt_f64_f32_e32 v[6:7], v6
	v_mul_f64 v[4:5], v[4:5], s[12:13]
	v_mul_f64 v[6:7], v[6:7], s[12:13]
	v_and_or_b32 v0, v5, s15, v4
	v_cmp_ne_u32_e32 vcc, 0, v0
	v_and_or_b32 v6, v7, s15, v6
	v_lshrrev_b32_e32 v1, 8, v5
	v_bfe_u32 v4, v5, 20, 11
	v_cndmask_b32_e64 v0, 0, 1, vcc
	v_cmp_ne_u32_e32 vcc, 0, v6
	v_lshrrev_b32_e32 v10, 8, v7
	v_bfe_u32 v11, v7, 20, 11
	v_sub_u32_e32 v12, 0x3f1, v4
	v_cndmask_b32_e64 v6, 0, 1, vcc
	v_and_or_b32 v0, v1, s10, v0
	v_sub_u32_e32 v13, 0x3f1, v11
	v_med3_i32 v1, v12, 0, 13
	v_and_or_b32 v6, v10, s10, v6
	v_or_b32_e32 v12, 0x1000, v0
	v_add_u32_e32 v4, 0xfffffc10, v4
	v_med3_i32 v10, v13, 0, 13
	v_cmp_ne_u32_e32 vcc, 0, v0
	v_or_b32_e32 v14, 0x1000, v6
	v_lshrrev_b32_e32 v16, v1, v12
	v_add_u32_e32 v11, 0xfffffc10, v11
	v_lshl_or_b32 v13, v4, 12, v0
	v_cndmask_b32_e64 v0, 0, 1, vcc
	v_cmp_ne_u32_e32 vcc, 0, v6
	v_lshrrev_b32_e32 v17, v10, v14
	v_lshlrev_b32_e32 v1, v1, v16
	v_lshl_or_b32 v15, v11, 12, v6
	v_cndmask_b32_e64 v6, 0, 1, vcc
	v_lshlrev_b32_e32 v10, v10, v17
	v_cmp_ne_u32_e32 vcc, v1, v12
	v_cndmask_b32_e64 v1, 0, 1, vcc
	v_cmp_ne_u32_e32 vcc, v10, v14
	v_cndmask_b32_e64 v10, 0, 1, vcc
	v_or_b32_e32 v1, v16, v1
	v_cmp_gt_i32_e32 vcc, 1, v4
	v_cndmask_b32_e32 v1, v13, v1, vcc
	v_or_b32_e32 v10, v17, v10
	v_cmp_gt_i32_e32 vcc, 1, v11
	v_and_b32_e32 v12, 7, v1
	v_cndmask_b32_e32 v10, v15, v10, vcc
	v_cmp_lt_i32_e32 vcc, 5, v12
	v_cmp_eq_u32_e64 s[0:1], 3, v12
	v_lshrrev_b32_e32 v1, 2, v1
	v_and_b32_e32 v13, 7, v10
	s_or_b64 vcc, s[0:1], vcc
	v_cmp_lt_i32_e64 s[2:3], 5, v13
	v_cmp_eq_u32_e64 s[4:5], 3, v13
	v_addc_co_u32_e32 v1, vcc, 0, v1, vcc
	v_lshrrev_b32_e32 v10, 2, v10
	s_or_b64 vcc, s[4:5], s[2:3]
	v_addc_co_u32_e32 v10, vcc, 0, v10, vcc
	v_cmp_gt_i32_e32 vcc, 31, v4
	v_cndmask_b32_e32 v1, v2, v1, vcc
	v_cmp_gt_i32_e32 vcc, 31, v11
	v_lshl_or_b32 v0, v0, 9, v2
	v_cndmask_b32_e32 v10, v2, v10, vcc
	v_cmp_eq_u32_e32 vcc, s11, v4
	v_lshrrev_b32_e32 v5, 16, v5
	v_lshl_or_b32 v6, v6, 9, v2
	v_cndmask_b32_e32 v0, v1, v0, vcc
	v_cmp_eq_u32_e32 vcc, s11, v11
	v_lshrrev_b32_e32 v7, 16, v7
	v_cndmask_b32_e32 v1, v10, v6, vcc
	v_and_or_b32 v0, v5, s14, v0
	v_and_or_b32 v1, v7, s14, v1
	v_and_b32_e32 v0, 0xffff, v0
	v_lshl_or_b32 v0, v1, 16, v0
	global_store_dword v[8:9], v0, off
	global_load_dword v0, v[20:21], off offset:3892
	v_add_u32_e32 v1, 0xe00, v71
	ds_read2_b32 v[4:5], v1 offset0:77 offset1:224
	s_waitcnt lgkmcnt(0)
	v_lshrrev_b32_e32 v1, 16, v4
	s_waitcnt vmcnt(0)
	v_mul_f16_sdwa v6, v1, v0 dst_sel:DWORD dst_unused:UNUSED_PAD src0_sel:DWORD src1_sel:WORD_1
	v_fma_f16 v6, v4, v0, v6
	v_mul_f16_sdwa v4, v4, v0 dst_sel:DWORD dst_unused:UNUSED_PAD src0_sel:DWORD src1_sel:WORD_1
	v_cvt_f32_f16_e32 v6, v6
	v_fma_f16 v0, v0, v1, -v4
	v_cvt_f32_f16_e32 v4, v0
	v_cvt_f64_f32_e32 v[0:1], v6
	v_cvt_f64_f32_e32 v[6:7], v4
	v_mul_f64 v[10:11], v[0:1], s[12:13]
	v_add_co_u32_e32 v0, vcc, s16, v20
	v_mul_f64 v[6:7], v[6:7], s[12:13]
	v_addc_co_u32_e32 v1, vcc, 0, v21, vcc
	v_add_co_u32_e32 v8, vcc, s6, v8
	v_addc_co_u32_e32 v9, vcc, v9, v3, vcc
	v_and_or_b32 v4, v11, s15, v10
	v_and_or_b32 v6, v7, s15, v6
	v_cmp_ne_u32_e32 vcc, 0, v4
	v_lshrrev_b32_e32 v10, 8, v11
	v_bfe_u32 v12, v11, 20, 11
	v_cndmask_b32_e64 v4, 0, 1, vcc
	v_cmp_ne_u32_e32 vcc, 0, v6
	v_lshrrev_b32_e32 v13, 8, v7
	v_bfe_u32 v14, v7, 20, 11
	v_sub_u32_e32 v15, 0x3f1, v12
	v_cndmask_b32_e64 v6, 0, 1, vcc
	v_and_or_b32 v4, v10, s10, v4
	v_sub_u32_e32 v16, 0x3f1, v14
	v_med3_i32 v10, v15, 0, 13
	v_and_or_b32 v6, v13, s10, v6
	v_or_b32_e32 v15, 0x1000, v4
	v_add_u32_e32 v12, 0xfffffc10, v12
	v_med3_i32 v13, v16, 0, 13
	v_cmp_ne_u32_e32 vcc, 0, v4
	v_or_b32_e32 v17, 0x1000, v6
	v_lshrrev_b32_e32 v19, v10, v15
	v_add_u32_e32 v14, 0xfffffc10, v14
	v_lshl_or_b32 v16, v12, 12, v4
	v_cndmask_b32_e64 v4, 0, 1, vcc
	v_cmp_ne_u32_e32 vcc, 0, v6
	v_lshrrev_b32_e32 v20, v13, v17
	v_lshlrev_b32_e32 v10, v10, v19
	v_lshl_or_b32 v18, v14, 12, v6
	v_cndmask_b32_e64 v6, 0, 1, vcc
	v_lshlrev_b32_e32 v13, v13, v20
	v_cmp_ne_u32_e32 vcc, v10, v15
	v_cndmask_b32_e64 v10, 0, 1, vcc
	v_cmp_ne_u32_e32 vcc, v13, v17
	v_cndmask_b32_e64 v13, 0, 1, vcc
	v_or_b32_e32 v10, v19, v10
	v_cmp_gt_i32_e32 vcc, 1, v12
	v_cndmask_b32_e32 v10, v16, v10, vcc
	v_or_b32_e32 v13, v20, v13
	v_cmp_gt_i32_e32 vcc, 1, v14
	v_and_b32_e32 v15, 7, v10
	v_cndmask_b32_e32 v13, v18, v13, vcc
	v_cmp_lt_i32_e32 vcc, 5, v15
	v_cmp_eq_u32_e64 s[0:1], 3, v15
	v_lshrrev_b32_e32 v10, 2, v10
	v_and_b32_e32 v16, 7, v13
	s_or_b64 vcc, s[0:1], vcc
	v_cmp_lt_i32_e64 s[2:3], 5, v16
	v_cmp_eq_u32_e64 s[4:5], 3, v16
	v_addc_co_u32_e32 v10, vcc, 0, v10, vcc
	v_lshrrev_b32_e32 v13, 2, v13
	s_or_b64 vcc, s[4:5], s[2:3]
	v_addc_co_u32_e32 v13, vcc, 0, v13, vcc
	v_cmp_gt_i32_e32 vcc, 31, v12
	v_cndmask_b32_e32 v10, v2, v10, vcc
	v_cmp_gt_i32_e32 vcc, 31, v14
	v_lshl_or_b32 v4, v4, 9, v2
	v_cndmask_b32_e32 v13, v2, v13, vcc
	v_cmp_eq_u32_e32 vcc, s11, v12
	v_lshrrev_b32_e32 v11, 16, v11
	v_lshl_or_b32 v6, v6, 9, v2
	v_cndmask_b32_e32 v4, v10, v4, vcc
	v_cmp_eq_u32_e32 vcc, s11, v14
	v_lshrrev_b32_e32 v7, 16, v7
	v_cndmask_b32_e32 v6, v13, v6, vcc
	v_and_or_b32 v4, v11, s14, v4
	v_and_or_b32 v6, v7, s14, v6
	v_and_b32_e32 v4, 0xffff, v4
	v_lshl_or_b32 v4, v6, 16, v4
	global_store_dword v[8:9], v4, off
	global_load_dword v4, v[0:1], off offset:384
	v_lshrrev_b32_e32 v6, 16, v5
	v_add_co_u32_e32 v8, vcc, s6, v8
	v_addc_co_u32_e32 v9, vcc, v9, v3, vcc
	s_waitcnt vmcnt(0)
	v_mul_f16_sdwa v7, v6, v4 dst_sel:DWORD dst_unused:UNUSED_PAD src0_sel:DWORD src1_sel:WORD_1
	v_fma_f16 v7, v5, v4, v7
	v_mul_f16_sdwa v5, v5, v4 dst_sel:DWORD dst_unused:UNUSED_PAD src0_sel:DWORD src1_sel:WORD_1
	v_cvt_f32_f16_e32 v7, v7
	v_fma_f16 v4, v4, v6, -v5
	v_cvt_f32_f16_e32 v6, v4
	v_cvt_f64_f32_e32 v[4:5], v7
	v_cvt_f64_f32_e32 v[6:7], v6
	v_mul_f64 v[4:5], v[4:5], s[12:13]
	v_mul_f64 v[6:7], v[6:7], s[12:13]
	v_and_or_b32 v4, v5, s15, v4
	v_cmp_ne_u32_e32 vcc, 0, v4
	v_and_or_b32 v6, v7, s15, v6
	v_lshrrev_b32_e32 v10, 8, v5
	v_bfe_u32 v11, v5, 20, 11
	v_cndmask_b32_e64 v4, 0, 1, vcc
	v_cmp_ne_u32_e32 vcc, 0, v6
	v_lshrrev_b32_e32 v12, 8, v7
	v_bfe_u32 v13, v7, 20, 11
	v_sub_u32_e32 v14, 0x3f1, v11
	v_cndmask_b32_e64 v6, 0, 1, vcc
	v_and_or_b32 v4, v10, s10, v4
	v_sub_u32_e32 v15, 0x3f1, v13
	v_med3_i32 v10, v14, 0, 13
	v_and_or_b32 v6, v12, s10, v6
	v_or_b32_e32 v14, 0x1000, v4
	v_add_u32_e32 v11, 0xfffffc10, v11
	v_med3_i32 v12, v15, 0, 13
	v_cmp_ne_u32_e32 vcc, 0, v4
	v_or_b32_e32 v16, 0x1000, v6
	v_lshrrev_b32_e32 v18, v10, v14
	v_add_u32_e32 v13, 0xfffffc10, v13
	v_lshl_or_b32 v15, v11, 12, v4
	v_cndmask_b32_e64 v4, 0, 1, vcc
	v_cmp_ne_u32_e32 vcc, 0, v6
	v_lshrrev_b32_e32 v19, v12, v16
	v_lshlrev_b32_e32 v10, v10, v18
	v_lshl_or_b32 v17, v13, 12, v6
	v_cndmask_b32_e64 v6, 0, 1, vcc
	v_lshlrev_b32_e32 v12, v12, v19
	v_cmp_ne_u32_e32 vcc, v10, v14
	v_cndmask_b32_e64 v10, 0, 1, vcc
	v_cmp_ne_u32_e32 vcc, v12, v16
	v_cndmask_b32_e64 v12, 0, 1, vcc
	v_or_b32_e32 v10, v18, v10
	v_cmp_gt_i32_e32 vcc, 1, v11
	v_cndmask_b32_e32 v10, v15, v10, vcc
	v_or_b32_e32 v12, v19, v12
	v_cmp_gt_i32_e32 vcc, 1, v13
	v_and_b32_e32 v14, 7, v10
	v_cndmask_b32_e32 v12, v17, v12, vcc
	v_cmp_lt_i32_e32 vcc, 5, v14
	v_cmp_eq_u32_e64 s[0:1], 3, v14
	v_lshrrev_b32_e32 v10, 2, v10
	v_and_b32_e32 v15, 7, v12
	s_or_b64 vcc, s[0:1], vcc
	v_cmp_lt_i32_e64 s[2:3], 5, v15
	v_cmp_eq_u32_e64 s[4:5], 3, v15
	v_addc_co_u32_e32 v10, vcc, 0, v10, vcc
	v_lshrrev_b32_e32 v12, 2, v12
	s_or_b64 vcc, s[4:5], s[2:3]
	v_addc_co_u32_e32 v12, vcc, 0, v12, vcc
	v_cmp_gt_i32_e32 vcc, 31, v11
	v_cndmask_b32_e32 v10, v2, v10, vcc
	v_cmp_gt_i32_e32 vcc, 31, v13
	v_lshl_or_b32 v4, v4, 9, v2
	v_cndmask_b32_e32 v12, v2, v12, vcc
	v_cmp_eq_u32_e32 vcc, s11, v11
	v_lshrrev_b32_e32 v5, 16, v5
	v_lshl_or_b32 v6, v6, 9, v2
	v_cndmask_b32_e32 v4, v10, v4, vcc
	v_cmp_eq_u32_e32 vcc, s11, v13
	v_lshrrev_b32_e32 v7, 16, v7
	v_cndmask_b32_e32 v6, v12, v6, vcc
	v_and_or_b32 v4, v5, s14, v4
	v_and_or_b32 v5, v7, s14, v6
	v_and_b32_e32 v4, 0xffff, v4
	v_lshl_or_b32 v4, v5, 16, v4
	global_store_dword v[8:9], v4, off
	global_load_dword v6, v[0:1], off offset:972
	v_add_u32_e32 v4, 0x1300, v71
	ds_read2_b32 v[4:5], v4 offset0:51 offset1:198
	v_add_co_u32_e32 v8, vcc, s6, v8
	v_addc_co_u32_e32 v9, vcc, v9, v3, vcc
	s_waitcnt lgkmcnt(0)
	v_lshrrev_b32_e32 v7, 16, v4
	s_waitcnt vmcnt(0)
	v_mul_f16_sdwa v10, v7, v6 dst_sel:DWORD dst_unused:UNUSED_PAD src0_sel:DWORD src1_sel:WORD_1
	v_fma_f16 v10, v4, v6, v10
	v_mul_f16_sdwa v4, v4, v6 dst_sel:DWORD dst_unused:UNUSED_PAD src0_sel:DWORD src1_sel:WORD_1
	v_cvt_f32_f16_e32 v10, v10
	v_fma_f16 v4, v6, v7, -v4
	v_cvt_f32_f16_e32 v4, v4
	v_cvt_f64_f32_e32 v[6:7], v10
	v_cvt_f64_f32_e32 v[10:11], v4
	v_mul_f64 v[6:7], v[6:7], s[12:13]
	v_mul_f64 v[10:11], v[10:11], s[12:13]
	v_and_or_b32 v4, v7, s15, v6
	v_cmp_ne_u32_e32 vcc, 0, v4
	v_and_or_b32 v10, v11, s15, v10
	v_lshrrev_b32_e32 v6, 8, v7
	v_bfe_u32 v12, v7, 20, 11
	v_cndmask_b32_e64 v4, 0, 1, vcc
	v_cmp_ne_u32_e32 vcc, 0, v10
	v_lshrrev_b32_e32 v13, 8, v11
	v_bfe_u32 v14, v11, 20, 11
	v_sub_u32_e32 v15, 0x3f1, v12
	v_cndmask_b32_e64 v10, 0, 1, vcc
	v_and_or_b32 v4, v6, s10, v4
	v_sub_u32_e32 v16, 0x3f1, v14
	v_med3_i32 v6, v15, 0, 13
	v_and_or_b32 v10, v13, s10, v10
	v_or_b32_e32 v15, 0x1000, v4
	v_add_u32_e32 v12, 0xfffffc10, v12
	v_med3_i32 v13, v16, 0, 13
	v_cmp_ne_u32_e32 vcc, 0, v4
	v_or_b32_e32 v17, 0x1000, v10
	v_lshrrev_b32_e32 v19, v6, v15
	v_add_u32_e32 v14, 0xfffffc10, v14
	v_lshl_or_b32 v16, v12, 12, v4
	v_cndmask_b32_e64 v4, 0, 1, vcc
	v_cmp_ne_u32_e32 vcc, 0, v10
	v_lshrrev_b32_e32 v20, v13, v17
	v_lshlrev_b32_e32 v6, v6, v19
	v_lshl_or_b32 v18, v14, 12, v10
	v_cndmask_b32_e64 v10, 0, 1, vcc
	v_lshlrev_b32_e32 v13, v13, v20
	v_cmp_ne_u32_e32 vcc, v6, v15
	v_cndmask_b32_e64 v6, 0, 1, vcc
	v_cmp_ne_u32_e32 vcc, v13, v17
	v_cndmask_b32_e64 v13, 0, 1, vcc
	v_or_b32_e32 v6, v19, v6
	v_cmp_gt_i32_e32 vcc, 1, v12
	v_cndmask_b32_e32 v6, v16, v6, vcc
	v_or_b32_e32 v13, v20, v13
	v_cmp_gt_i32_e32 vcc, 1, v14
	v_and_b32_e32 v15, 7, v6
	v_cndmask_b32_e32 v13, v18, v13, vcc
	v_cmp_lt_i32_e32 vcc, 5, v15
	v_cmp_eq_u32_e64 s[0:1], 3, v15
	v_lshrrev_b32_e32 v6, 2, v6
	v_and_b32_e32 v16, 7, v13
	s_or_b64 vcc, s[0:1], vcc
	v_cmp_lt_i32_e64 s[2:3], 5, v16
	v_cmp_eq_u32_e64 s[4:5], 3, v16
	v_addc_co_u32_e32 v6, vcc, 0, v6, vcc
	v_lshrrev_b32_e32 v13, 2, v13
	s_or_b64 vcc, s[4:5], s[2:3]
	v_addc_co_u32_e32 v13, vcc, 0, v13, vcc
	v_cmp_gt_i32_e32 vcc, 31, v12
	v_cndmask_b32_e32 v6, v2, v6, vcc
	v_cmp_gt_i32_e32 vcc, 31, v14
	v_lshl_or_b32 v4, v4, 9, v2
	v_cndmask_b32_e32 v13, v2, v13, vcc
	v_cmp_eq_u32_e32 vcc, s11, v12
	v_lshrrev_b32_e32 v7, 16, v7
	v_lshl_or_b32 v10, v10, 9, v2
	v_cndmask_b32_e32 v4, v6, v4, vcc
	v_cmp_eq_u32_e32 vcc, s11, v14
	v_lshrrev_b32_e32 v11, 16, v11
	v_cndmask_b32_e32 v6, v13, v10, vcc
	v_and_or_b32 v4, v7, s14, v4
	v_and_or_b32 v6, v11, s14, v6
	v_and_b32_e32 v4, 0xffff, v4
	v_lshl_or_b32 v4, v6, 16, v4
	global_store_dword v[8:9], v4, off
	global_load_dword v4, v[0:1], off offset:1560
	v_lshrrev_b32_e32 v6, 16, v5
	v_add_co_u32_e32 v8, vcc, s6, v8
	v_addc_co_u32_e32 v9, vcc, v9, v3, vcc
	s_waitcnt vmcnt(0)
	v_mul_f16_sdwa v7, v6, v4 dst_sel:DWORD dst_unused:UNUSED_PAD src0_sel:DWORD src1_sel:WORD_1
	v_fma_f16 v7, v5, v4, v7
	v_mul_f16_sdwa v5, v5, v4 dst_sel:DWORD dst_unused:UNUSED_PAD src0_sel:DWORD src1_sel:WORD_1
	v_cvt_f32_f16_e32 v7, v7
	v_fma_f16 v4, v4, v6, -v5
	v_cvt_f32_f16_e32 v6, v4
	v_cvt_f64_f32_e32 v[4:5], v7
	v_cvt_f64_f32_e32 v[6:7], v6
	v_mul_f64 v[4:5], v[4:5], s[12:13]
	v_mul_f64 v[6:7], v[6:7], s[12:13]
	v_and_or_b32 v4, v5, s15, v4
	v_cmp_ne_u32_e32 vcc, 0, v4
	v_and_or_b32 v6, v7, s15, v6
	v_lshrrev_b32_e32 v10, 8, v5
	v_bfe_u32 v11, v5, 20, 11
	v_cndmask_b32_e64 v4, 0, 1, vcc
	v_cmp_ne_u32_e32 vcc, 0, v6
	v_lshrrev_b32_e32 v12, 8, v7
	v_bfe_u32 v13, v7, 20, 11
	v_sub_u32_e32 v14, 0x3f1, v11
	v_cndmask_b32_e64 v6, 0, 1, vcc
	v_and_or_b32 v4, v10, s10, v4
	v_sub_u32_e32 v15, 0x3f1, v13
	v_med3_i32 v10, v14, 0, 13
	v_and_or_b32 v6, v12, s10, v6
	v_or_b32_e32 v14, 0x1000, v4
	v_add_u32_e32 v11, 0xfffffc10, v11
	v_med3_i32 v12, v15, 0, 13
	v_cmp_ne_u32_e32 vcc, 0, v4
	v_or_b32_e32 v16, 0x1000, v6
	v_lshrrev_b32_e32 v18, v10, v14
	v_add_u32_e32 v13, 0xfffffc10, v13
	v_lshl_or_b32 v15, v11, 12, v4
	v_cndmask_b32_e64 v4, 0, 1, vcc
	v_cmp_ne_u32_e32 vcc, 0, v6
	v_lshrrev_b32_e32 v19, v12, v16
	v_lshlrev_b32_e32 v10, v10, v18
	v_lshl_or_b32 v17, v13, 12, v6
	v_cndmask_b32_e64 v6, 0, 1, vcc
	v_lshlrev_b32_e32 v12, v12, v19
	v_cmp_ne_u32_e32 vcc, v10, v14
	v_cndmask_b32_e64 v10, 0, 1, vcc
	v_cmp_ne_u32_e32 vcc, v12, v16
	v_cndmask_b32_e64 v12, 0, 1, vcc
	v_or_b32_e32 v10, v18, v10
	v_cmp_gt_i32_e32 vcc, 1, v11
	v_cndmask_b32_e32 v10, v15, v10, vcc
	v_or_b32_e32 v12, v19, v12
	v_cmp_gt_i32_e32 vcc, 1, v13
	v_and_b32_e32 v14, 7, v10
	v_cndmask_b32_e32 v12, v17, v12, vcc
	v_cmp_lt_i32_e32 vcc, 5, v14
	v_cmp_eq_u32_e64 s[0:1], 3, v14
	v_lshrrev_b32_e32 v10, 2, v10
	v_and_b32_e32 v15, 7, v12
	s_or_b64 vcc, s[0:1], vcc
	v_cmp_lt_i32_e64 s[2:3], 5, v15
	v_cmp_eq_u32_e64 s[4:5], 3, v15
	v_addc_co_u32_e32 v10, vcc, 0, v10, vcc
	v_lshrrev_b32_e32 v12, 2, v12
	s_or_b64 vcc, s[4:5], s[2:3]
	v_addc_co_u32_e32 v12, vcc, 0, v12, vcc
	v_cmp_gt_i32_e32 vcc, 31, v11
	v_cndmask_b32_e32 v10, v2, v10, vcc
	v_cmp_gt_i32_e32 vcc, 31, v13
	v_lshl_or_b32 v4, v4, 9, v2
	v_cndmask_b32_e32 v12, v2, v12, vcc
	v_cmp_eq_u32_e32 vcc, s11, v11
	v_lshrrev_b32_e32 v5, 16, v5
	v_lshl_or_b32 v6, v6, 9, v2
	v_cndmask_b32_e32 v4, v10, v4, vcc
	v_cmp_eq_u32_e32 vcc, s11, v13
	v_lshrrev_b32_e32 v7, 16, v7
	v_cndmask_b32_e32 v6, v12, v6, vcc
	v_and_or_b32 v4, v5, s14, v4
	v_and_or_b32 v5, v7, s14, v6
	v_and_b32_e32 v4, 0xffff, v4
	v_lshl_or_b32 v4, v5, 16, v4
	global_store_dword v[8:9], v4, off
	global_load_dword v6, v[0:1], off offset:2148
	ds_read2_b32 v[4:5], v23 offset0:25 offset1:172
	v_add_co_u32_e32 v8, vcc, s6, v8
	v_addc_co_u32_e32 v9, vcc, v9, v3, vcc
	s_waitcnt lgkmcnt(0)
	v_lshrrev_b32_e32 v7, 16, v4
	s_waitcnt vmcnt(0)
	v_mul_f16_sdwa v10, v7, v6 dst_sel:DWORD dst_unused:UNUSED_PAD src0_sel:DWORD src1_sel:WORD_1
	v_fma_f16 v10, v4, v6, v10
	v_mul_f16_sdwa v4, v4, v6 dst_sel:DWORD dst_unused:UNUSED_PAD src0_sel:DWORD src1_sel:WORD_1
	v_cvt_f32_f16_e32 v10, v10
	v_fma_f16 v4, v6, v7, -v4
	v_cvt_f32_f16_e32 v4, v4
	v_cvt_f64_f32_e32 v[6:7], v10
	v_cvt_f64_f32_e32 v[10:11], v4
	v_mul_f64 v[6:7], v[6:7], s[12:13]
	v_mul_f64 v[10:11], v[10:11], s[12:13]
	v_and_or_b32 v4, v7, s15, v6
	v_cmp_ne_u32_e32 vcc, 0, v4
	v_and_or_b32 v10, v11, s15, v10
	v_lshrrev_b32_e32 v6, 8, v7
	v_bfe_u32 v12, v7, 20, 11
	v_cndmask_b32_e64 v4, 0, 1, vcc
	v_cmp_ne_u32_e32 vcc, 0, v10
	v_lshrrev_b32_e32 v13, 8, v11
	v_bfe_u32 v14, v11, 20, 11
	v_sub_u32_e32 v15, 0x3f1, v12
	v_cndmask_b32_e64 v10, 0, 1, vcc
	v_and_or_b32 v4, v6, s10, v4
	v_sub_u32_e32 v16, 0x3f1, v14
	v_med3_i32 v6, v15, 0, 13
	v_and_or_b32 v10, v13, s10, v10
	v_or_b32_e32 v15, 0x1000, v4
	v_add_u32_e32 v12, 0xfffffc10, v12
	v_med3_i32 v13, v16, 0, 13
	v_cmp_ne_u32_e32 vcc, 0, v4
	v_or_b32_e32 v17, 0x1000, v10
	v_lshrrev_b32_e32 v19, v6, v15
	v_add_u32_e32 v14, 0xfffffc10, v14
	v_lshl_or_b32 v16, v12, 12, v4
	v_cndmask_b32_e64 v4, 0, 1, vcc
	v_cmp_ne_u32_e32 vcc, 0, v10
	v_lshrrev_b32_e32 v20, v13, v17
	v_lshlrev_b32_e32 v6, v6, v19
	v_lshl_or_b32 v18, v14, 12, v10
	v_cndmask_b32_e64 v10, 0, 1, vcc
	v_lshlrev_b32_e32 v13, v13, v20
	v_cmp_ne_u32_e32 vcc, v6, v15
	v_cndmask_b32_e64 v6, 0, 1, vcc
	v_cmp_ne_u32_e32 vcc, v13, v17
	v_cndmask_b32_e64 v13, 0, 1, vcc
	v_or_b32_e32 v6, v19, v6
	v_cmp_gt_i32_e32 vcc, 1, v12
	v_cndmask_b32_e32 v6, v16, v6, vcc
	v_or_b32_e32 v13, v20, v13
	v_cmp_gt_i32_e32 vcc, 1, v14
	v_and_b32_e32 v15, 7, v6
	v_cndmask_b32_e32 v13, v18, v13, vcc
	v_cmp_lt_i32_e32 vcc, 5, v15
	v_cmp_eq_u32_e64 s[0:1], 3, v15
	v_lshrrev_b32_e32 v6, 2, v6
	v_and_b32_e32 v16, 7, v13
	s_or_b64 vcc, s[0:1], vcc
	v_cmp_lt_i32_e64 s[2:3], 5, v16
	v_cmp_eq_u32_e64 s[4:5], 3, v16
	v_addc_co_u32_e32 v6, vcc, 0, v6, vcc
	v_lshrrev_b32_e32 v13, 2, v13
	s_or_b64 vcc, s[4:5], s[2:3]
	v_addc_co_u32_e32 v13, vcc, 0, v13, vcc
	v_cmp_gt_i32_e32 vcc, 31, v12
	v_cndmask_b32_e32 v6, v2, v6, vcc
	v_cmp_gt_i32_e32 vcc, 31, v14
	v_lshl_or_b32 v4, v4, 9, v2
	v_cndmask_b32_e32 v13, v2, v13, vcc
	v_cmp_eq_u32_e32 vcc, s11, v12
	v_lshrrev_b32_e32 v7, 16, v7
	v_lshl_or_b32 v10, v10, 9, v2
	v_cndmask_b32_e32 v4, v6, v4, vcc
	v_cmp_eq_u32_e32 vcc, s11, v14
	v_lshrrev_b32_e32 v11, 16, v11
	v_cndmask_b32_e32 v6, v13, v10, vcc
	v_and_or_b32 v4, v7, s14, v4
	v_and_or_b32 v6, v11, s14, v6
	v_and_b32_e32 v4, 0xffff, v4
	v_lshl_or_b32 v4, v6, 16, v4
	global_store_dword v[8:9], v4, off
	global_load_dword v4, v[0:1], off offset:2736
	v_lshrrev_b32_e32 v6, 16, v5
	v_add_co_u32_e32 v8, vcc, s6, v8
	v_addc_co_u32_e32 v9, vcc, v9, v3, vcc
	s_waitcnt vmcnt(0)
	v_mul_f16_sdwa v7, v6, v4 dst_sel:DWORD dst_unused:UNUSED_PAD src0_sel:DWORD src1_sel:WORD_1
	v_fma_f16 v7, v5, v4, v7
	v_mul_f16_sdwa v5, v5, v4 dst_sel:DWORD dst_unused:UNUSED_PAD src0_sel:DWORD src1_sel:WORD_1
	v_cvt_f32_f16_e32 v7, v7
	v_fma_f16 v4, v4, v6, -v5
	v_cvt_f32_f16_e32 v6, v4
	v_cvt_f64_f32_e32 v[4:5], v7
	v_cvt_f64_f32_e32 v[6:7], v6
	v_mul_f64 v[4:5], v[4:5], s[12:13]
	v_mul_f64 v[6:7], v[6:7], s[12:13]
	v_and_or_b32 v4, v5, s15, v4
	v_cmp_ne_u32_e32 vcc, 0, v4
	v_and_or_b32 v6, v7, s15, v6
	v_lshrrev_b32_e32 v10, 8, v5
	v_bfe_u32 v11, v5, 20, 11
	v_cndmask_b32_e64 v4, 0, 1, vcc
	v_cmp_ne_u32_e32 vcc, 0, v6
	v_lshrrev_b32_e32 v12, 8, v7
	v_bfe_u32 v13, v7, 20, 11
	v_sub_u32_e32 v14, 0x3f1, v11
	v_cndmask_b32_e64 v6, 0, 1, vcc
	v_and_or_b32 v4, v10, s10, v4
	v_sub_u32_e32 v15, 0x3f1, v13
	v_med3_i32 v10, v14, 0, 13
	v_and_or_b32 v6, v12, s10, v6
	v_or_b32_e32 v14, 0x1000, v4
	v_add_u32_e32 v11, 0xfffffc10, v11
	v_med3_i32 v12, v15, 0, 13
	v_cmp_ne_u32_e32 vcc, 0, v4
	v_or_b32_e32 v16, 0x1000, v6
	v_lshrrev_b32_e32 v18, v10, v14
	v_add_u32_e32 v13, 0xfffffc10, v13
	v_lshl_or_b32 v15, v11, 12, v4
	v_cndmask_b32_e64 v4, 0, 1, vcc
	v_cmp_ne_u32_e32 vcc, 0, v6
	v_lshrrev_b32_e32 v19, v12, v16
	v_lshlrev_b32_e32 v10, v10, v18
	v_lshl_or_b32 v17, v13, 12, v6
	v_cndmask_b32_e64 v6, 0, 1, vcc
	v_lshlrev_b32_e32 v12, v12, v19
	v_cmp_ne_u32_e32 vcc, v10, v14
	v_cndmask_b32_e64 v10, 0, 1, vcc
	v_cmp_ne_u32_e32 vcc, v12, v16
	v_cndmask_b32_e64 v12, 0, 1, vcc
	v_or_b32_e32 v10, v18, v10
	v_cmp_gt_i32_e32 vcc, 1, v11
	v_cndmask_b32_e32 v10, v15, v10, vcc
	v_or_b32_e32 v12, v19, v12
	v_cmp_gt_i32_e32 vcc, 1, v13
	v_and_b32_e32 v14, 7, v10
	v_cndmask_b32_e32 v12, v17, v12, vcc
	v_cmp_lt_i32_e32 vcc, 5, v14
	v_cmp_eq_u32_e64 s[0:1], 3, v14
	v_lshrrev_b32_e32 v10, 2, v10
	v_and_b32_e32 v15, 7, v12
	s_or_b64 vcc, s[0:1], vcc
	v_cmp_lt_i32_e64 s[2:3], 5, v15
	v_cmp_eq_u32_e64 s[4:5], 3, v15
	v_addc_co_u32_e32 v10, vcc, 0, v10, vcc
	v_lshrrev_b32_e32 v12, 2, v12
	s_or_b64 vcc, s[4:5], s[2:3]
	v_addc_co_u32_e32 v12, vcc, 0, v12, vcc
	v_cmp_gt_i32_e32 vcc, 31, v11
	v_cndmask_b32_e32 v10, v2, v10, vcc
	v_cmp_gt_i32_e32 vcc, 31, v13
	v_lshl_or_b32 v4, v4, 9, v2
	v_cndmask_b32_e32 v12, v2, v12, vcc
	v_cmp_eq_u32_e32 vcc, s11, v11
	v_lshrrev_b32_e32 v5, 16, v5
	v_lshl_or_b32 v6, v6, 9, v2
	v_cndmask_b32_e32 v4, v10, v4, vcc
	v_cmp_eq_u32_e32 vcc, s11, v13
	v_lshrrev_b32_e32 v7, 16, v7
	v_cndmask_b32_e32 v6, v12, v6, vcc
	v_and_or_b32 v4, v5, s14, v4
	v_and_or_b32 v5, v7, s14, v6
	v_and_b32_e32 v4, 0xffff, v4
	v_lshl_or_b32 v4, v5, 16, v4
	global_store_dword v[8:9], v4, off
	global_load_dword v0, v[0:1], off offset:3324
	ds_read_b32 v1, v71 offset:7420
	s_waitcnt lgkmcnt(0)
	v_lshrrev_b32_e32 v4, 16, v1
	s_waitcnt vmcnt(0)
	v_mul_f16_sdwa v5, v4, v0 dst_sel:DWORD dst_unused:UNUSED_PAD src0_sel:DWORD src1_sel:WORD_1
	v_fma_f16 v5, v1, v0, v5
	v_mul_f16_sdwa v1, v1, v0 dst_sel:DWORD dst_unused:UNUSED_PAD src0_sel:DWORD src1_sel:WORD_1
	v_cvt_f32_f16_e32 v5, v5
	v_fma_f16 v0, v0, v4, -v1
	v_cvt_f32_f16_e32 v4, v0
	v_cvt_f64_f32_e32 v[0:1], v5
	v_cvt_f64_f32_e32 v[4:5], v4
	v_mul_f64 v[0:1], v[0:1], s[12:13]
	v_mul_f64 v[4:5], v[4:5], s[12:13]
	v_and_or_b32 v0, v1, s15, v0
	v_cmp_ne_u32_e32 vcc, 0, v0
	v_and_or_b32 v4, v5, s15, v4
	v_lshrrev_b32_e32 v6, 8, v1
	v_bfe_u32 v7, v1, 20, 11
	v_cndmask_b32_e64 v0, 0, 1, vcc
	v_cmp_ne_u32_e32 vcc, 0, v4
	v_lshrrev_b32_e32 v10, 8, v5
	v_bfe_u32 v11, v5, 20, 11
	v_sub_u32_e32 v12, 0x3f1, v7
	v_cndmask_b32_e64 v4, 0, 1, vcc
	v_and_or_b32 v0, v6, s10, v0
	v_sub_u32_e32 v13, 0x3f1, v11
	v_med3_i32 v6, v12, 0, 13
	v_and_or_b32 v4, v10, s10, v4
	v_or_b32_e32 v12, 0x1000, v0
	v_add_u32_e32 v7, 0xfffffc10, v7
	v_med3_i32 v10, v13, 0, 13
	v_cmp_ne_u32_e32 vcc, 0, v0
	v_or_b32_e32 v14, 0x1000, v4
	v_lshrrev_b32_e32 v16, v6, v12
	v_add_u32_e32 v11, 0xfffffc10, v11
	v_lshl_or_b32 v13, v7, 12, v0
	v_cndmask_b32_e64 v0, 0, 1, vcc
	v_cmp_ne_u32_e32 vcc, 0, v4
	v_lshrrev_b32_e32 v17, v10, v14
	v_lshlrev_b32_e32 v6, v6, v16
	v_lshl_or_b32 v15, v11, 12, v4
	v_cndmask_b32_e64 v4, 0, 1, vcc
	v_lshlrev_b32_e32 v10, v10, v17
	v_cmp_ne_u32_e32 vcc, v6, v12
	v_cndmask_b32_e64 v6, 0, 1, vcc
	v_cmp_ne_u32_e32 vcc, v10, v14
	v_cndmask_b32_e64 v10, 0, 1, vcc
	v_or_b32_e32 v6, v16, v6
	v_cmp_gt_i32_e32 vcc, 1, v7
	v_cndmask_b32_e32 v6, v13, v6, vcc
	v_or_b32_e32 v10, v17, v10
	v_cmp_gt_i32_e32 vcc, 1, v11
	v_and_b32_e32 v12, 7, v6
	v_cndmask_b32_e32 v10, v15, v10, vcc
	v_cmp_lt_i32_e32 vcc, 5, v12
	v_cmp_eq_u32_e64 s[0:1], 3, v12
	v_lshrrev_b32_e32 v6, 2, v6
	v_and_b32_e32 v13, 7, v10
	s_or_b64 vcc, s[0:1], vcc
	v_cmp_lt_i32_e64 s[2:3], 5, v13
	v_cmp_eq_u32_e64 s[4:5], 3, v13
	v_addc_co_u32_e32 v6, vcc, 0, v6, vcc
	v_lshrrev_b32_e32 v10, 2, v10
	s_or_b64 vcc, s[4:5], s[2:3]
	v_addc_co_u32_e32 v10, vcc, 0, v10, vcc
	v_cmp_gt_i32_e32 vcc, 31, v7
	v_cndmask_b32_e32 v6, v2, v6, vcc
	v_cmp_gt_i32_e32 vcc, 31, v11
	v_lshl_or_b32 v0, v0, 9, v2
	v_lshl_or_b32 v4, v4, 9, v2
	v_cndmask_b32_e32 v2, v2, v10, vcc
	v_cmp_eq_u32_e32 vcc, s11, v7
	v_lshrrev_b32_e32 v1, 16, v1
	v_cndmask_b32_e32 v0, v6, v0, vcc
	v_cmp_eq_u32_e32 vcc, s11, v11
	v_lshrrev_b32_e32 v5, 16, v5
	v_cndmask_b32_e32 v2, v2, v4, vcc
	v_and_or_b32 v0, v1, s14, v0
	v_and_or_b32 v1, v5, s14, v2
	v_and_b32_e32 v0, 0xffff, v0
	v_lshl_or_b32 v2, v1, 16, v0
	v_add_co_u32_e32 v0, vcc, s6, v8
	v_addc_co_u32_e32 v1, vcc, v9, v3, vcc
	global_store_dword v[0:1], v2, off
.LBB0_15:
	s_endpgm
	.section	.rodata,"a",@progbits
	.p2align	6, 0x0
	.amdhsa_kernel bluestein_single_fwd_len1911_dim1_half_op_CI_CI
		.amdhsa_group_segment_fixed_size 7644
		.amdhsa_private_segment_fixed_size 0
		.amdhsa_kernarg_size 104
		.amdhsa_user_sgpr_count 6
		.amdhsa_user_sgpr_private_segment_buffer 1
		.amdhsa_user_sgpr_dispatch_ptr 0
		.amdhsa_user_sgpr_queue_ptr 0
		.amdhsa_user_sgpr_kernarg_segment_ptr 1
		.amdhsa_user_sgpr_dispatch_id 0
		.amdhsa_user_sgpr_flat_scratch_init 0
		.amdhsa_user_sgpr_private_segment_size 0
		.amdhsa_uses_dynamic_stack 0
		.amdhsa_system_sgpr_private_segment_wavefront_offset 0
		.amdhsa_system_sgpr_workgroup_id_x 1
		.amdhsa_system_sgpr_workgroup_id_y 0
		.amdhsa_system_sgpr_workgroup_id_z 0
		.amdhsa_system_sgpr_workgroup_info 0
		.amdhsa_system_vgpr_workitem_id 0
		.amdhsa_next_free_vgpr 190
		.amdhsa_next_free_sgpr 44
		.amdhsa_reserve_vcc 1
		.amdhsa_reserve_flat_scratch 0
		.amdhsa_float_round_mode_32 0
		.amdhsa_float_round_mode_16_64 0
		.amdhsa_float_denorm_mode_32 3
		.amdhsa_float_denorm_mode_16_64 3
		.amdhsa_dx10_clamp 1
		.amdhsa_ieee_mode 1
		.amdhsa_fp16_overflow 0
		.amdhsa_exception_fp_ieee_invalid_op 0
		.amdhsa_exception_fp_denorm_src 0
		.amdhsa_exception_fp_ieee_div_zero 0
		.amdhsa_exception_fp_ieee_overflow 0
		.amdhsa_exception_fp_ieee_underflow 0
		.amdhsa_exception_fp_ieee_inexact 0
		.amdhsa_exception_int_div_zero 0
	.end_amdhsa_kernel
	.text
.Lfunc_end0:
	.size	bluestein_single_fwd_len1911_dim1_half_op_CI_CI, .Lfunc_end0-bluestein_single_fwd_len1911_dim1_half_op_CI_CI
                                        ; -- End function
	.section	.AMDGPU.csdata,"",@progbits
; Kernel info:
; codeLenInByte = 41852
; NumSgprs: 48
; NumVgprs: 190
; ScratchSize: 0
; MemoryBound: 0
; FloatMode: 240
; IeeeMode: 1
; LDSByteSize: 7644 bytes/workgroup (compile time only)
; SGPRBlocks: 5
; VGPRBlocks: 47
; NumSGPRsForWavesPerEU: 48
; NumVGPRsForWavesPerEU: 190
; Occupancy: 1
; WaveLimiterHint : 1
; COMPUTE_PGM_RSRC2:SCRATCH_EN: 0
; COMPUTE_PGM_RSRC2:USER_SGPR: 6
; COMPUTE_PGM_RSRC2:TRAP_HANDLER: 0
; COMPUTE_PGM_RSRC2:TGID_X_EN: 1
; COMPUTE_PGM_RSRC2:TGID_Y_EN: 0
; COMPUTE_PGM_RSRC2:TGID_Z_EN: 0
; COMPUTE_PGM_RSRC2:TIDIG_COMP_CNT: 0
	.type	__hip_cuid_8269ae76a68137bd,@object ; @__hip_cuid_8269ae76a68137bd
	.section	.bss,"aw",@nobits
	.globl	__hip_cuid_8269ae76a68137bd
__hip_cuid_8269ae76a68137bd:
	.byte	0                               ; 0x0
	.size	__hip_cuid_8269ae76a68137bd, 1

	.ident	"AMD clang version 19.0.0git (https://github.com/RadeonOpenCompute/llvm-project roc-6.4.0 25133 c7fe45cf4b819c5991fe208aaa96edf142730f1d)"
	.section	".note.GNU-stack","",@progbits
	.addrsig
	.addrsig_sym __hip_cuid_8269ae76a68137bd
	.amdgpu_metadata
---
amdhsa.kernels:
  - .args:
      - .actual_access:  read_only
        .address_space:  global
        .offset:         0
        .size:           8
        .value_kind:     global_buffer
      - .actual_access:  read_only
        .address_space:  global
        .offset:         8
        .size:           8
        .value_kind:     global_buffer
      - .actual_access:  read_only
        .address_space:  global
        .offset:         16
        .size:           8
        .value_kind:     global_buffer
      - .actual_access:  read_only
        .address_space:  global
        .offset:         24
        .size:           8
        .value_kind:     global_buffer
      - .actual_access:  read_only
        .address_space:  global
        .offset:         32
        .size:           8
        .value_kind:     global_buffer
      - .offset:         40
        .size:           8
        .value_kind:     by_value
      - .address_space:  global
        .offset:         48
        .size:           8
        .value_kind:     global_buffer
      - .address_space:  global
        .offset:         56
        .size:           8
        .value_kind:     global_buffer
      - .address_space:  global
        .offset:         64
        .size:           8
        .value_kind:     global_buffer
      - .address_space:  global
        .offset:         72
        .size:           8
        .value_kind:     global_buffer
      - .offset:         80
        .size:           4
        .value_kind:     by_value
      - .address_space:  global
        .offset:         88
        .size:           8
        .value_kind:     global_buffer
      - .address_space:  global
        .offset:         96
        .size:           8
        .value_kind:     global_buffer
    .group_segment_fixed_size: 7644
    .kernarg_segment_align: 8
    .kernarg_segment_size: 104
    .language:       OpenCL C
    .language_version:
      - 2
      - 0
    .max_flat_workgroup_size: 91
    .name:           bluestein_single_fwd_len1911_dim1_half_op_CI_CI
    .private_segment_fixed_size: 0
    .sgpr_count:     48
    .sgpr_spill_count: 0
    .symbol:         bluestein_single_fwd_len1911_dim1_half_op_CI_CI.kd
    .uniform_work_group_size: 1
    .uses_dynamic_stack: false
    .vgpr_count:     190
    .vgpr_spill_count: 0
    .wavefront_size: 64
amdhsa.target:   amdgcn-amd-amdhsa--gfx906
amdhsa.version:
  - 1
  - 2
...

	.end_amdgpu_metadata
